;; amdgpu-corpus repo=ROCm/rocFFT kind=compiled arch=gfx1100 opt=O3
	.text
	.amdgcn_target "amdgcn-amd-amdhsa--gfx1100"
	.amdhsa_code_object_version 6
	.protected	bluestein_single_back_len840_dim1_dp_op_CI_CI ; -- Begin function bluestein_single_back_len840_dim1_dp_op_CI_CI
	.globl	bluestein_single_back_len840_dim1_dp_op_CI_CI
	.p2align	8
	.type	bluestein_single_back_len840_dim1_dp_op_CI_CI,@function
bluestein_single_back_len840_dim1_dp_op_CI_CI: ; @bluestein_single_back_len840_dim1_dp_op_CI_CI
; %bb.0:
	s_load_b128 s[8:11], s[0:1], 0x28
	v_mul_u32_u24_e32 v1, 0x493, v0
	s_mov_b32 s2, exec_lo
	v_mov_b32_e32 v8, 0
	s_delay_alu instid0(VALU_DEP_2) | instskip(NEXT) | instid1(VALU_DEP_1)
	v_lshrrev_b32_e32 v1, 16, v1
	v_add_nc_u32_e32 v7, s15, v1
	s_waitcnt lgkmcnt(0)
	s_delay_alu instid0(VALU_DEP_1)
	v_cmpx_gt_u64_e64 s[8:9], v[7:8]
	s_cbranch_execz .LBB0_39
; %bb.1:
	s_clause 0x1
	s_load_b128 s[4:7], s[0:1], 0x18
	s_load_b64 s[2:3], s[0:1], 0x0
	v_mul_lo_u16 v1, v1, 56
	s_delay_alu instid0(VALU_DEP_1) | instskip(NEXT) | instid1(VALU_DEP_1)
	v_sub_nc_u16 v2, v0, v1
	v_and_b32_e32 v54, 0xffff, v2
	s_delay_alu instid0(VALU_DEP_1)
	v_lshlrev_b32_e32 v28, 4, v54
	s_waitcnt lgkmcnt(0)
	s_load_b128 s[12:15], s[4:5], 0x0
	s_clause 0x3
	global_load_b128 v[122:125], v28, s[2:3]
	global_load_b128 v[126:129], v28, s[2:3] offset:896
	global_load_b128 v[130:133], v28, s[2:3] offset:1792
	;; [unrolled: 1-line block ×3, first 2 shown]
	v_add_co_u32 v31, s4, s2, v28
	s_delay_alu instid0(VALU_DEP_1) | instskip(NEXT) | instid1(VALU_DEP_2)
	v_add_co_ci_u32_e64 v5, null, s3, 0, s4
	v_add_co_u32 v29, vcc_lo, 0x1000, v31
	s_delay_alu instid0(VALU_DEP_2)
	v_add_co_ci_u32_e32 v30, vcc_lo, 0, v5, vcc_lo
	v_add_co_u32 v36, vcc_lo, 0x2000, v31
	scratch_store_b32 off, v5, off offset:4 ; 4-byte Folded Spill
	v_add_co_ci_u32_e32 v37, vcc_lo, 0, v5, vcc_lo
	v_mov_b32_e32 v5, v7
	s_waitcnt lgkmcnt(0)
	v_mad_u64_u32 v[0:1], null, s14, v7, 0
	v_mad_u64_u32 v[3:4], null, s12, v54, 0
	scratch_store_b64 off, v[5:6], off offset:8 ; 8-byte Folded Spill
	s_mul_hi_u32 s5, s12, 0x1a4
	s_mul_hi_u32 s9, s12, 0xfffffe94
	s_mul_i32 s8, s13, 0xfffffe94
	v_mad_u64_u32 v[5:6], null, s15, v7, v[1:2]
	s_mul_i32 s4, s12, 0xfffffe94
	s_delay_alu instid0(VALU_DEP_1)
	v_mov_b32_e32 v1, v5
	v_mad_u64_u32 v[6:7], null, s13, v54, v[4:5]
	global_load_b128 v[138:141], v28, s[2:3] offset:3584
	s_mul_i32 s3, s13, 0x1a4
	v_lshlrev_b64 v[0:1], 4, v[0:1]
	s_mul_i32 s2, s12, 0x1a4
	s_add_i32 s3, s5, s3
	s_sub_i32 s5, s9, s12
	v_mov_b32_e32 v4, v6
	s_add_i32 s5, s5, s8
	v_add_co_u32 v0, vcc_lo, s10, v0
	v_add_co_ci_u32_e32 v1, vcc_lo, s11, v1, vcc_lo
	s_delay_alu instid0(VALU_DEP_3)
	v_lshlrev_b64 v[3:4], 4, v[3:4]
	s_lshl_b64 s[10:11], s[2:3], 4
	s_lshl_b64 s[2:3], s[4:5], 4
	s_clause 0x4
	global_load_b128 v[154:157], v[29:30], off offset:2624
	global_load_b128 v[150:153], v[29:30], off offset:3520
	;; [unrolled: 1-line block ×5, first 2 shown]
	v_add_co_u32 v0, vcc_lo, v0, v3
	v_add_co_ci_u32_e32 v1, vcc_lo, v1, v4, vcc_lo
	s_clause 0x1
	global_load_b128 v[162:165], v[36:37], off offset:2112
	global_load_b128 v[166:169], v[36:37], off offset:3008
	v_add_co_u32 v7, vcc_lo, v0, s10
	v_add_co_ci_u32_e32 v8, vcc_lo, s11, v1, vcc_lo
	s_delay_alu instid0(VALU_DEP_2) | instskip(NEXT) | instid1(VALU_DEP_2)
	v_add_co_u32 v11, vcc_lo, v7, s2
	v_add_co_ci_u32_e32 v12, vcc_lo, s3, v8, vcc_lo
	s_clause 0x1
	global_load_b128 v[3:6], v[0:1], off
	global_load_b128 v[7:10], v[7:8], off
	v_add_co_u32 v15, vcc_lo, v11, s10
	v_add_co_ci_u32_e32 v16, vcc_lo, s11, v12, vcc_lo
	s_delay_alu instid0(VALU_DEP_2) | instskip(NEXT) | instid1(VALU_DEP_2)
	v_add_co_u32 v19, vcc_lo, v15, s2
	v_add_co_ci_u32_e32 v20, vcc_lo, s3, v16, vcc_lo
	s_clause 0x1
	global_load_b128 v[11:14], v[11:12], off
	global_load_b128 v[15:18], v[15:16], off
	v_add_co_u32 v0, vcc_lo, v19, s10
	v_add_co_ci_u32_e32 v1, vcc_lo, s11, v20, vcc_lo
	scratch_store_b64 off, v[29:30], off offset:68 ; 8-byte Folded Spill
	v_add_co_u32 v32, vcc_lo, v0, s2
	v_add_co_ci_u32_e32 v33, vcc_lo, s3, v1, vcc_lo
	global_load_b128 v[23:26], v[0:1], off
	v_add_co_u32 v38, vcc_lo, v32, s10
	v_add_co_ci_u32_e32 v39, vcc_lo, s11, v33, vcc_lo
	global_load_b128 v[19:22], v[19:20], off
	;; [unrolled: 3-line block ×8, first 2 shown]
	global_load_b128 v[170:173], v[29:30], off offset:1280
	global_load_b128 v[76:79], v[40:41], off
	global_load_b128 v[174:177], v[36:37], off offset:3904
	global_load_b128 v[80:83], v[0:1], off
	v_cmp_gt_u16_e32 vcc_lo, 28, v2
	s_waitcnt vmcnt(27)
	scratch_store_b128 off, v[122:125], off offset:20 ; 16-byte Folded Spill
	s_waitcnt vmcnt(26)
	scratch_store_b128 off, v[126:129], off offset:36 ; 16-byte Folded Spill
	;; [unrolled: 2-line block ×12, first 2 shown]
	s_waitcnt vmcnt(15)
	v_mul_f64 v[36:37], v[5:6], v[124:125]
	v_mul_f64 v[38:39], v[3:4], v[124:125]
	s_waitcnt vmcnt(14)
	v_mul_f64 v[40:41], v[9:10], v[156:157]
	v_mul_f64 v[42:43], v[7:8], v[156:157]
	;; [unrolled: 3-line block ×8, first 2 shown]
	v_fma_f64 v[3:4], v[3:4], v[122:123], v[36:37]
	v_fma_f64 v[5:6], v[5:6], v[122:123], -v[38:39]
	v_fma_f64 v[7:8], v[7:8], v[154:155], v[40:41]
	s_waitcnt vmcnt(7)
	v_mul_f64 v[102:103], v[66:67], v[164:165]
	v_mul_f64 v[104:105], v[64:65], v[164:165]
	v_fma_f64 v[9:10], v[9:10], v[154:155], -v[42:43]
	s_waitcnt vmcnt(6)
	v_mul_f64 v[90:91], v[34:35], v[136:137]
	v_mul_f64 v[92:93], v[32:33], v[136:137]
	v_fma_f64 v[11:12], v[11:12], v[126:127], v[44:45]
	v_fma_f64 v[13:14], v[13:14], v[126:127], -v[46:47]
	v_fma_f64 v[15:16], v[15:16], v[150:151], v[48:49]
	s_waitcnt vmcnt(5)
	v_mul_f64 v[110:111], v[74:75], v[168:169]
	v_mul_f64 v[112:113], v[72:73], v[168:169]
	v_fma_f64 v[17:18], v[17:18], v[150:151], -v[50:51]
	s_waitcnt vmcnt(3)
	scratch_store_b128 off, v[170:173], off offset:220 ; 16-byte Folded Spill
	s_waitcnt vmcnt(2)
	v_mul_f64 v[114:115], v[78:79], v[172:173]
	s_waitcnt vmcnt(1)
	scratch_store_b128 off, v[174:177], off offset:236 ; 16-byte Folded Spill
	v_mul_f64 v[116:117], v[76:77], v[172:173]
	s_waitcnt vmcnt(0)
	v_mul_f64 v[118:119], v[82:83], v[176:177]
	v_mul_f64 v[120:121], v[80:81], v[176:177]
	;; [unrolled: 1-line block ×4, first 2 shown]
	v_fma_f64 v[23:24], v[23:24], v[146:147], v[86:87]
	v_fma_f64 v[25:26], v[25:26], v[146:147], -v[88:89]
	v_fma_f64 v[19:20], v[19:20], v[130:131], v[52:53]
	v_fma_f64 v[21:22], v[21:22], v[130:131], -v[84:85]
	s_load_b64 s[8:9], s[0:1], 0x38
	s_load_b128 s[4:7], s[6:7], 0x0
	v_fma_f64 v[56:57], v[56:57], v[142:143], v[94:95]
	v_fma_f64 v[58:59], v[58:59], v[142:143], -v[96:97]
	v_fma_f64 v[60:61], v[60:61], v[138:139], v[98:99]
	v_fma_f64 v[62:63], v[62:63], v[138:139], -v[100:101]
	;; [unrolled: 2-line block ×8, first 2 shown]
	ds_store_b128 v28, v[3:6]
	ds_store_b128 v28, v[11:14] offset:896
	ds_store_b128 v28, v[15:18] offset:7616
	;; [unrolled: 1-line block ×13, first 2 shown]
	s_and_saveexec_b32 s12, vcc_lo
	s_cbranch_execz .LBB0_3
; %bb.2:
	scratch_load_b32 v2, off, off offset:4  ; 4-byte Folded Reload
	v_add_co_u32 v0, s2, v0, s2
	s_delay_alu instid0(VALU_DEP_1) | instskip(SKIP_4) | instid1(VALU_DEP_1)
	v_add_co_ci_u32_e64 v1, s2, s3, v1, s2
	v_add_co_u32 v8, s2, 0x3000, v31
	s_waitcnt vmcnt(0)
	v_add_co_ci_u32_e64 v9, s2, 0, v2, s2
	v_add_co_u32 v12, s2, v0, s10
	v_add_co_ci_u32_e64 v13, s2, s11, v1, s2
	global_load_b128 v[0:3], v[0:1], off
	scratch_load_b64 v[4:5], off, off offset:68 ; 8-byte Folded Reload
	s_waitcnt vmcnt(0)
	s_clause 0x1
	global_load_b128 v[4:7], v[4:5], off offset:2176
	global_load_b128 v[8:11], v[8:9], off offset:704
	global_load_b128 v[12:15], v[12:13], off
	s_waitcnt vmcnt(2)
	v_mul_f64 v[16:17], v[2:3], v[6:7]
	v_mul_f64 v[6:7], v[0:1], v[6:7]
	s_waitcnt vmcnt(0)
	v_mul_f64 v[18:19], v[14:15], v[10:11]
	v_mul_f64 v[10:11], v[12:13], v[10:11]
	s_delay_alu instid0(VALU_DEP_4) | instskip(NEXT) | instid1(VALU_DEP_4)
	v_fma_f64 v[0:1], v[0:1], v[4:5], v[16:17]
	v_fma_f64 v[2:3], v[2:3], v[4:5], -v[6:7]
	s_delay_alu instid0(VALU_DEP_4) | instskip(NEXT) | instid1(VALU_DEP_4)
	v_fma_f64 v[4:5], v[12:13], v[8:9], v[18:19]
	v_fma_f64 v[6:7], v[14:15], v[8:9], -v[10:11]
	ds_store_b128 v28, v[0:3] offset:6272
	ds_store_b128 v28, v[4:7] offset:12992
.LBB0_3:
	s_or_b32 exec_lo, exec_lo, s12
	s_waitcnt lgkmcnt(0)
	s_waitcnt_vscnt null, 0x0
	s_barrier
	buffer_gl0_inv
	ds_load_b128 v[0:3], v28
	ds_load_b128 v[4:7], v28 offset:896
	ds_load_b128 v[96:99], v28 offset:7616
	;; [unrolled: 1-line block ×13, first 2 shown]
                                        ; implicit-def: $vgpr76_vgpr77
                                        ; implicit-def: $vgpr60_vgpr61
	s_and_saveexec_b32 s2, vcc_lo
	s_cbranch_execz .LBB0_5
; %bb.4:
	ds_load_b128 v[76:79], v28 offset:6272
	ds_load_b128 v[60:63], v28 offset:12992
.LBB0_5:
	s_or_b32 exec_lo, exec_lo, s2
	s_waitcnt lgkmcnt(3)
	v_add_f64 v[32:33], v[0:1], -v[16:17]
	v_add_f64 v[34:35], v[2:3], -v[18:19]
	;; [unrolled: 1-line block ×4, first 2 shown]
	s_waitcnt lgkmcnt(0)
	v_add_f64 v[60:61], v[76:77], -v[60:61]
	v_add_f64 v[62:63], v[78:79], -v[62:63]
	;; [unrolled: 1-line block ×12, first 2 shown]
	s_load_b64 s[2:3], s[0:1], 0x8
	v_add_co_u32 v17, s0, v54, 56
	v_lshlrev_b32_e32 v20, 1, v54
	v_add_co_u32 v27, null, 0x188, v54
	v_add_co_ci_u32_e64 v16, null, 0, 0, s0
	v_add_co_u32 v16, s0, 0x70, v54
	s_delay_alu instid0(VALU_DEP_1)
	v_add_co_ci_u32_e64 v18, null, 0, 0, s0
	v_add_co_u32 v18, null, 0xa8, v54
	v_add_co_u32 v19, null, 0xe0, v54
	v_add_nc_u32_e32 v25, 0x230, v20
	v_add_nc_u32_e32 v26, 0x2a0, v20
	v_lshlrev_b32_e32 v30, 5, v27
	s_waitcnt lgkmcnt(0)
	s_barrier
	buffer_gl0_inv
	v_fma_f64 v[0:1], v[0:1], 2.0, -v[32:33]
	v_fma_f64 v[2:3], v[2:3], 2.0, -v[34:35]
	;; [unrolled: 1-line block ×16, first 2 shown]
	v_lshlrev_b32_e32 v39, 5, v54
	v_lshlrev_b32_e32 v21, 1, v17
	;; [unrolled: 1-line block ×9, first 2 shown]
	s_clause 0x1
	scratch_store_b32 off, v30, off offset:392
	scratch_store_b32 off, v39, off offset:284
	v_lshlrev_b32_e32 v41, 4, v25
	v_lshlrev_b32_e32 v30, 4, v26
	;; [unrolled: 1-line block ×3, first 2 shown]
	ds_store_b128 v39, v[0:3]
	ds_store_b128 v39, v[32:35] offset:16
	ds_store_b128 v38, v[4:7]
	scratch_store_b32 off, v38, off offset:280 ; 4-byte Folded Spill
	ds_store_b128 v38, v[96:99] offset:16
	ds_store_b128 v37, v[100:103]
	scratch_store_b32 off, v37, off offset:272 ; 4-byte Folded Spill
	;; [unrolled: 3-line block ×4, first 2 shown]
	ds_store_b128 v40, v[84:87] offset:16
	ds_store_b128 v29, v[64:67] offset:8960
	scratch_store_b32 off, v41, off offset:296 ; 4-byte Folded Spill
	ds_store_b128 v41, v[80:83] offset:16
	ds_store_b128 v29, v[72:75] offset:10752
	scratch_store_b32 off, v30, off offset:276 ; 4-byte Folded Spill
	ds_store_b128 v30, v[12:15] offset:16
	s_and_saveexec_b32 s0, vcc_lo
	s_cbranch_execz .LBB0_7
; %bb.6:
	v_lshlrev_b32_e32 v0, 5, v27
	ds_store_b128 v0, v[56:59]
	ds_store_b128 v0, v[60:63] offset:16
.LBB0_7:
	s_or_b32 exec_lo, exec_lo, s0
	s_waitcnt lgkmcnt(0)
	s_waitcnt_vscnt null, 0x0
	s_barrier
	buffer_gl0_inv
	ds_load_b128 v[64:67], v28
	ds_load_b128 v[68:71], v28 offset:896
	ds_load_b128 v[0:3], v28 offset:7616
	;; [unrolled: 1-line block ×13, first 2 shown]
	s_and_saveexec_b32 s0, vcc_lo
	s_cbranch_execz .LBB0_9
; %bb.8:
	ds_load_b128 v[56:59], v28 offset:6272
	ds_load_b128 v[60:63], v28 offset:12992
.LBB0_9:
	s_or_b32 exec_lo, exec_lo, s0
	v_and_b32_e32 v55, 1, v54
	v_lshlrev_b32_e32 v27, 1, v27
	s_delay_alu instid0(VALU_DEP_2)
	v_lshlrev_b32_e32 v29, 4, v55
	s_clause 0x1
	scratch_store_b32 off, v27, off
	scratch_store_b32 off, v55, off offset:384
	v_and_or_b32 v27, 0x7c, v20, v55
	v_and_or_b32 v30, 0x1fc, v22, v55
	global_load_b128 v[76:79], v29, s[2:3]
	v_and_or_b32 v29, 0xfc, v21, v55
	s_waitcnt vmcnt(0) lgkmcnt(0)
	s_waitcnt_vscnt null, 0x0
	s_barrier
	buffer_gl0_inv
	v_mul_f64 v[32:33], v[106:107], v[78:79]
	v_mul_f64 v[34:35], v[104:105], v[78:79]
	;; [unrolled: 1-line block ×16, first 2 shown]
	v_fma_f64 v[32:33], v[104:105], v[76:77], -v[32:33]
	v_fma_f64 v[34:35], v[106:107], v[76:77], v[34:35]
	v_fma_f64 v[60:61], v[60:61], v[76:77], -v[114:115]
	v_fma_f64 v[62:63], v[62:63], v[76:77], v[116:117]
	;; [unrolled: 2-line block ×8, first 2 shown]
	v_add_f64 v[0:1], v[64:65], -v[32:33]
	v_add_f64 v[2:3], v[66:67], -v[34:35]
	;; [unrolled: 1-line block ×16, first 2 shown]
	v_and_or_b32 v36, 0x1fc, v23, v55
	v_and_or_b32 v37, 0x3fc, v24, v55
	;; [unrolled: 1-line block ×4, first 2 shown]
	v_lshlrev_b32_e32 v42, 4, v27
	v_lshlrev_b32_e32 v41, 4, v29
	;; [unrolled: 1-line block ×7, first 2 shown]
	scratch_store_b32 off, v42, off offset:348 ; 4-byte Folded Spill
	v_fma_f64 v[64:65], v[64:65], 2.0, -v[0:1]
	v_fma_f64 v[66:67], v[66:67], 2.0, -v[2:3]
	;; [unrolled: 1-line block ×16, first 2 shown]
	ds_store_b128 v42, v[64:67]
	ds_store_b128 v42, v[0:3] offset:32
	ds_store_b128 v41, v[68:71]
	scratch_store_b32 off, v41, off offset:340 ; 4-byte Folded Spill
	ds_store_b128 v41, v[4:7] offset:32
	ds_store_b128 v40, v[80:83]
	scratch_store_b32 off, v40, off offset:332 ; 4-byte Folded Spill
	;; [unrolled: 3-line block ×6, first 2 shown]
	ds_store_b128 v27, v[100:103] offset:32
	s_and_saveexec_b32 s0, vcc_lo
	s_cbranch_execz .LBB0_11
; %bb.10:
	scratch_load_b32 v0, off, off           ; 4-byte Folded Reload
	v_and_b32_e32 v1, 1, v54
	s_waitcnt vmcnt(0)
	s_delay_alu instid0(VALU_DEP_1) | instskip(NEXT) | instid1(VALU_DEP_1)
	v_and_or_b32 v0, 0x37c, v0, v1
	v_lshlrev_b32_e32 v0, 4, v0
	ds_store_b128 v0, v[56:59]
	ds_store_b128 v0, v[60:63] offset:32
.LBB0_11:
	s_or_b32 exec_lo, exec_lo, s0
	s_waitcnt lgkmcnt(0)
	s_waitcnt_vscnt null, 0x0
	s_barrier
	buffer_gl0_inv
	ds_load_b128 v[68:71], v28
	ds_load_b128 v[80:83], v28 offset:896
	ds_load_b128 v[0:3], v28 offset:7616
	;; [unrolled: 1-line block ×13, first 2 shown]
	s_and_saveexec_b32 s0, vcc_lo
	s_cbranch_execz .LBB0_13
; %bb.12:
	ds_load_b128 v[56:59], v28 offset:6272
	ds_load_b128 v[60:63], v28 offset:12992
.LBB0_13:
	s_or_b32 exec_lo, exec_lo, s0
	v_and_b32_e32 v29, 3, v54
	s_delay_alu instid0(VALU_DEP_1)
	v_lshlrev_b32_e32 v27, 4, v29
	v_and_or_b32 v20, 0x78, v20, v29
	v_and_or_b32 v21, 0xf8, v21, v29
	;; [unrolled: 1-line block ×4, first 2 shown]
	global_load_b128 v[72:75], v27, s[2:3] offset:32
	v_and_or_b32 v24, 0x3f8, v24, v29
	v_and_or_b32 v25, 0x2f8, v25, v29
	;; [unrolled: 1-line block ×3, first 2 shown]
	scratch_store_b32 off, v29, off offset:388 ; 4-byte Folded Spill
	v_lshlrev_b32_e32 v30, 4, v20
	v_lshlrev_b32_e32 v29, 4, v21
	v_lshlrev_b32_e32 v27, 4, v22
	v_lshlrev_b32_e32 v23, 4, v23
	v_lshlrev_b32_e32 v22, 4, v24
	v_lshlrev_b32_e32 v21, 4, v25
	v_lshlrev_b32_e32 v20, 4, v26
	s_waitcnt vmcnt(0) lgkmcnt(0)
	s_waitcnt_vscnt null, 0x0
	s_barrier
	buffer_gl0_inv
	scratch_store_b32 off, v30, off offset:344 ; 4-byte Folded Spill
	v_mul_f64 v[32:33], v[110:111], v[74:75]
	v_mul_f64 v[34:35], v[108:109], v[74:75]
	;; [unrolled: 1-line block ×14, first 2 shown]
	v_fma_f64 v[32:33], v[108:109], v[72:73], -v[32:33]
	v_fma_f64 v[34:35], v[110:111], v[72:73], v[34:35]
	v_fma_f64 v[36:37], v[0:1], v[72:73], -v[36:37]
	v_fma_f64 v[38:39], v[2:3], v[72:73], v[38:39]
	;; [unrolled: 2-line block ×4, first 2 shown]
	v_mul_f64 v[110:111], v[62:63], v[74:75]
	v_mul_f64 v[112:113], v[60:61], v[74:75]
	v_fma_f64 v[44:45], v[8:9], v[72:73], -v[44:45]
	v_fma_f64 v[46:47], v[10:11], v[72:73], v[46:47]
	v_fma_f64 v[48:49], v[12:13], v[72:73], -v[48:49]
	v_fma_f64 v[50:51], v[14:15], v[72:73], v[50:51]
	;; [unrolled: 2-line block ×3, first 2 shown]
	v_add_f64 v[0:1], v[68:69], -v[32:33]
	v_add_f64 v[2:3], v[70:71], -v[34:35]
	;; [unrolled: 1-line block ×8, first 2 shown]
	v_fma_f64 v[36:37], v[60:61], v[72:73], -v[110:111]
	v_fma_f64 v[38:39], v[62:63], v[72:73], v[112:113]
	v_add_f64 v[12:13], v[84:85], -v[44:45]
	v_add_f64 v[14:15], v[86:87], -v[46:47]
	;; [unrolled: 1-line block ×6, first 2 shown]
	v_fma_f64 v[60:61], v[68:69], 2.0, -v[0:1]
	v_fma_f64 v[62:63], v[70:71], 2.0, -v[2:3]
	;; [unrolled: 1-line block ×8, first 2 shown]
	v_add_f64 v[88:89], v[56:57], -v[36:37]
	v_add_f64 v[90:91], v[58:59], -v[38:39]
	v_fma_f64 v[84:85], v[84:85], 2.0, -v[12:13]
	v_fma_f64 v[86:87], v[86:87], 2.0, -v[14:15]
	;; [unrolled: 1-line block ×6, first 2 shown]
	ds_store_b128 v30, v[60:63]
	ds_store_b128 v30, v[0:3] offset:64
	ds_store_b128 v29, v[68:71]
	scratch_store_b32 off, v29, off offset:336 ; 4-byte Folded Spill
	ds_store_b128 v29, v[4:7] offset:64
	ds_store_b128 v27, v[80:83]
	scratch_store_b32 off, v27, off offset:328 ; 4-byte Folded Spill
	;; [unrolled: 3-line block ×6, first 2 shown]
	ds_store_b128 v20, v[104:107] offset:64
	s_and_saveexec_b32 s0, vcc_lo
	s_cbranch_execz .LBB0_15
; %bb.14:
	scratch_load_b32 v4, off, off           ; 4-byte Folded Reload
	v_fma_f64 v[2:3], v[58:59], 2.0, -v[90:91]
	v_fma_f64 v[0:1], v[56:57], 2.0, -v[88:89]
	v_and_b32_e32 v5, 3, v54
	s_waitcnt vmcnt(0)
	s_delay_alu instid0(VALU_DEP_1) | instskip(NEXT) | instid1(VALU_DEP_1)
	v_and_or_b32 v4, 0x378, v4, v5
	v_lshlrev_b32_e32 v4, 4, v4
	ds_store_b128 v4, v[0:3]
	ds_store_b128 v4, v[88:91] offset:64
.LBB0_15:
	s_or_b32 exec_lo, exec_lo, s0
	v_and_b32_e32 v0, 7, v54
	s_waitcnt lgkmcnt(0)
	s_waitcnt_vscnt null, 0x0
	s_barrier
	buffer_gl0_inv
	s_mov_b32 s0, 0xe8584caa
	v_lshlrev_b32_e32 v1, 5, v0
	s_mov_b32 s1, 0x3febb67a
	s_mov_b32 s11, 0xbfebb67a
	;; [unrolled: 1-line block ×4, first 2 shown]
	s_clause 0x1
	global_load_b128 v[60:63], v1, s[2:3] offset:96
	global_load_b128 v[56:59], v1, s[2:3] offset:112
	ds_load_b128 v[68:71], v28 offset:4480
	ds_load_b128 v[64:67], v28 offset:8960
	;; [unrolled: 1-line block ×5, first 2 shown]
	s_mov_b32 s13, 0x3fee6f0e
	s_mov_b32 s15, 0xbfee6f0e
	;; [unrolled: 1-line block ×5, first 2 shown]
                                        ; implicit-def: $vgpr204_vgpr205
                                        ; implicit-def: $vgpr208_vgpr209
	s_waitcnt vmcnt(1) lgkmcnt(4)
	v_mul_f64 v[20:21], v[68:69], v[62:63]
	v_mul_f64 v[13:14], v[70:71], v[62:63]
	s_waitcnt vmcnt(0) lgkmcnt(3)
	v_mul_f64 v[24:25], v[66:67], v[58:59]
	v_mul_f64 v[26:27], v[64:65], v[58:59]
	s_delay_alu instid0(VALU_DEP_4)
	v_fma_f64 v[32:33], v[70:71], v[60:61], v[20:21]
	ds_load_b128 v[20:23], v28 offset:6272
	s_waitcnt lgkmcnt(2)
	v_mul_f64 v[34:35], v[11:12], v[62:63]
	v_mul_f64 v[36:37], v[9:10], v[62:63]
	v_fma_f64 v[13:14], v[68:69], v[60:61], -v[13:14]
	v_fma_f64 v[24:25], v[64:65], v[56:57], -v[24:25]
	v_fma_f64 v[26:27], v[66:67], v[56:57], v[26:27]
	v_fma_f64 v[34:35], v[9:10], v[60:61], -v[34:35]
	v_fma_f64 v[36:37], v[11:12], v[60:61], v[36:37]
	s_waitcnt lgkmcnt(1)
	v_mul_f64 v[9:10], v[7:8], v[58:59]
	v_mul_f64 v[11:12], v[5:6], v[58:59]
	s_delay_alu instid0(VALU_DEP_2) | instskip(NEXT) | instid1(VALU_DEP_2)
	v_fma_f64 v[38:39], v[5:6], v[56:57], -v[9:10]
	v_fma_f64 v[40:41], v[7:8], v[56:57], v[11:12]
	s_waitcnt lgkmcnt(0)
	v_mul_f64 v[5:6], v[22:23], v[62:63]
	v_mul_f64 v[7:8], v[20:21], v[62:63]
	s_delay_alu instid0(VALU_DEP_2) | instskip(NEXT) | instid1(VALU_DEP_2)
	v_fma_f64 v[42:43], v[20:21], v[60:61], -v[5:6]
	v_fma_f64 v[44:45], v[22:23], v[60:61], v[7:8]
	ds_load_b128 v[5:8], v28 offset:10752
	ds_load_b128 v[9:12], v28 offset:11648
	s_waitcnt lgkmcnt(1)
	v_mul_f64 v[20:21], v[7:8], v[58:59]
	s_delay_alu instid0(VALU_DEP_1) | instskip(SKIP_1) | instid1(VALU_DEP_1)
	v_fma_f64 v[46:47], v[5:6], v[56:57], -v[20:21]
	v_mul_f64 v[5:6], v[5:6], v[58:59]
	v_fma_f64 v[48:49], v[7:8], v[56:57], v[5:6]
	ds_load_b128 v[5:8], v28 offset:7168
	ds_load_b128 v[20:23], v28 offset:8064
	s_waitcnt lgkmcnt(1)
	v_mul_f64 v[50:51], v[7:8], v[62:63]
	s_delay_alu instid0(VALU_DEP_1) | instskip(SKIP_1) | instid1(VALU_DEP_1)
	v_fma_f64 v[50:51], v[5:6], v[60:61], -v[50:51]
	v_mul_f64 v[5:6], v[5:6], v[62:63]
	v_fma_f64 v[52:53], v[7:8], v[60:61], v[5:6]
	v_mul_f64 v[5:6], v[11:12], v[58:59]
	s_delay_alu instid0(VALU_DEP_1) | instskip(SKIP_1) | instid1(VALU_DEP_1)
	v_fma_f64 v[100:101], v[9:10], v[56:57], -v[5:6]
	v_mul_f64 v[5:6], v[9:10], v[58:59]
	v_fma_f64 v[102:103], v[11:12], v[56:57], v[5:6]
	s_waitcnt lgkmcnt(0)
	v_mul_f64 v[5:6], v[22:23], v[62:63]
	s_delay_alu instid0(VALU_DEP_1) | instskip(SKIP_2) | instid1(VALU_DEP_2)
	v_fma_f64 v[112:113], v[20:21], v[60:61], -v[5:6]
	v_mul_f64 v[5:6], v[20:21], v[62:63]
	v_add_f64 v[20:21], v[13:14], v[24:25]
	v_fma_f64 v[108:109], v[22:23], v[60:61], v[5:6]
	ds_load_b128 v[5:8], v28 offset:12544
	s_waitcnt lgkmcnt(0)
	v_mul_f64 v[9:10], v[7:8], v[58:59]
	s_delay_alu instid0(VALU_DEP_1) | instskip(SKIP_1) | instid1(VALU_DEP_1)
	v_fma_f64 v[114:115], v[5:6], v[56:57], -v[9:10]
	v_mul_f64 v[5:6], v[5:6], v[58:59]
	v_fma_f64 v[110:111], v[7:8], v[56:57], v[5:6]
	ds_load_b128 v[5:8], v28
	ds_load_b128 v[9:12], v28 offset:896
	s_waitcnt lgkmcnt(1)
	v_fma_f64 v[22:23], v[20:21], -0.5, v[5:6]
	v_add_f64 v[20:21], v[32:33], v[26:27]
	v_add_f64 v[5:6], v[5:6], v[13:14]
	v_add_f64 v[13:14], v[13:14], -v[24:25]
	s_delay_alu instid0(VALU_DEP_3) | instskip(SKIP_3) | instid1(VALU_DEP_3)
	v_fma_f64 v[64:65], v[20:21], -0.5, v[7:8]
	v_add_f64 v[7:8], v[7:8], v[32:33]
	v_add_f64 v[32:33], v[32:33], -v[26:27]
	v_add_f64 v[5:6], v[5:6], v[24:25]
	v_add_f64 v[7:8], v[7:8], v[26:27]
	s_delay_alu instid0(VALU_DEP_3)
	v_fma_f64 v[20:21], v[32:33], s[0:1], v[22:23]
	v_fma_f64 v[24:25], v[32:33], s[10:11], v[22:23]
	v_fma_f64 v[22:23], v[13:14], s[10:11], v[64:65]
	v_fma_f64 v[26:27], v[13:14], s[0:1], v[64:65]
	v_add_f64 v[13:14], v[34:35], v[38:39]
	v_add_f64 v[32:33], v[36:37], v[40:41]
	s_waitcnt lgkmcnt(0)
	s_delay_alu instid0(VALU_DEP_2) | instskip(NEXT) | instid1(VALU_DEP_2)
	v_fma_f64 v[13:14], v[13:14], -0.5, v[9:10]
	v_fma_f64 v[32:33], v[32:33], -0.5, v[11:12]
	v_add_f64 v[11:12], v[11:12], v[36:37]
	v_add_f64 v[36:37], v[36:37], -v[40:41]
	v_add_f64 v[9:10], v[9:10], v[34:35]
	v_add_f64 v[34:35], v[34:35], -v[38:39]
	s_delay_alu instid0(VALU_DEP_4) | instskip(NEXT) | instid1(VALU_DEP_4)
	v_add_f64 v[11:12], v[11:12], v[40:41]
	v_fma_f64 v[64:65], v[36:37], s[0:1], v[13:14]
	v_fma_f64 v[68:69], v[36:37], s[10:11], v[13:14]
	v_add_f64 v[13:14], v[42:43], v[46:47]
	v_fma_f64 v[66:67], v[34:35], s[10:11], v[32:33]
	v_fma_f64 v[70:71], v[34:35], s[0:1], v[32:33]
	ds_load_b128 v[32:35], v28 offset:1792
	ds_load_b128 v[80:83], v28 offset:2688
	v_add_f64 v[9:10], v[9:10], v[38:39]
	v_add_f64 v[36:37], v[44:45], v[48:49]
	v_add_f64 v[38:39], v[44:45], -v[48:49]
	s_waitcnt lgkmcnt(0)
	s_barrier
	buffer_gl0_inv
	v_fma_f64 v[13:14], v[13:14], -0.5, v[32:33]
	v_add_f64 v[32:33], v[32:33], v[42:43]
	v_fma_f64 v[36:37], v[36:37], -0.5, v[34:35]
	v_add_f64 v[34:35], v[34:35], v[44:45]
	s_delay_alu instid0(VALU_DEP_4) | instskip(NEXT) | instid1(VALU_DEP_4)
	v_fma_f64 v[92:93], v[38:39], s[0:1], v[13:14]
	v_add_f64 v[84:85], v[32:33], v[46:47]
	v_add_f64 v[32:33], v[42:43], -v[46:47]
	v_fma_f64 v[96:97], v[38:39], s[10:11], v[13:14]
	v_add_f64 v[13:14], v[50:51], v[100:101]
	v_add_f64 v[38:39], v[52:53], -v[102:103]
	v_add_f64 v[86:87], v[34:35], v[48:49]
	v_add_f64 v[34:35], v[82:83], v[52:53]
	v_fma_f64 v[94:95], v[32:33], s[10:11], v[36:37]
	v_fma_f64 v[98:99], v[32:33], s[0:1], v[36:37]
	v_fma_f64 v[13:14], v[13:14], -0.5, v[80:81]
	v_add_f64 v[32:33], v[52:53], v[102:103]
	v_add_f64 v[36:37], v[80:81], v[50:51]
	s_delay_alu instid0(VALU_DEP_3) | instskip(NEXT) | instid1(VALU_DEP_3)
	v_fma_f64 v[104:105], v[38:39], s[10:11], v[13:14]
	v_fma_f64 v[32:33], v[32:33], -0.5, v[82:83]
	v_add_f64 v[82:83], v[34:35], v[102:103]
	s_delay_alu instid0(VALU_DEP_4) | instskip(SKIP_3) | instid1(VALU_DEP_3)
	v_add_f64 v[80:81], v[36:37], v[100:101]
	v_add_f64 v[34:35], v[50:51], -v[100:101]
	v_fma_f64 v[100:101], v[38:39], s[0:1], v[13:14]
	v_add_f64 v[13:14], v[112:113], v[114:115]
	v_fma_f64 v[102:103], v[34:35], s[10:11], v[32:33]
	v_fma_f64 v[106:107], v[34:35], s[0:1], v[32:33]
	s_delay_alu instid0(VALU_DEP_3) | instskip(SKIP_3) | instid1(VALU_DEP_3)
	v_fma_f64 v[13:14], v[13:14], -0.5, v[1:2]
	v_add_f64 v[32:33], v[108:109], v[110:111]
	v_add_f64 v[1:2], v[1:2], v[112:113]
	v_add_f64 v[34:35], v[108:109], -v[110:111]
	v_fma_f64 v[32:33], v[32:33], -0.5, v[3:4]
	v_add_f64 v[3:4], v[3:4], v[108:109]
	s_delay_alu instid0(VALU_DEP_4)
	v_add_f64 v[108:109], v[1:2], v[114:115]
	v_add_f64 v[1:2], v[112:113], -v[114:115]
	v_fma_f64 v[116:117], v[34:35], s[10:11], v[13:14]
	v_fma_f64 v[112:113], v[34:35], s[0:1], v[13:14]
	v_add_f64 v[110:111], v[3:4], v[110:111]
	v_lshrrev_b32_e32 v3, 3, v19
	v_fma_f64 v[114:115], v[1:2], s[10:11], v[32:33]
	v_fma_f64 v[118:119], v[1:2], s[0:1], v[32:33]
	v_lshrrev_b32_e32 v1, 3, v54
	v_lshrrev_b32_e32 v2, 3, v18
	v_mul_u32_u24_e32 v3, 24, v3
	s_mov_b32 s0, 0x4755a5e
	s_mov_b32 s1, 0x3fe2cf23
	v_mul_u32_u24_e32 v1, 24, v1
	v_mul_u32_u24_e32 v2, 24, v2
	v_or_b32_e32 v3, v3, v0
	s_mov_b32 s11, 0xbfe2cf23
	s_mov_b32 s10, s0
	v_or_b32_e32 v1, v1, v0
	v_or_b32_e32 v2, v2, v0
	v_lshlrev_b32_e32 v3, 4, v3
	s_delay_alu instid0(VALU_DEP_3)
	v_lshlrev_b32_e32 v1, 4, v1
	ds_store_b128 v1, v[5:8]
	ds_store_b128 v1, v[20:23] offset:128
	scratch_store_b32 off, v1, off offset:376 ; 4-byte Folded Spill
	ds_store_b128 v1, v[24:27] offset:256
	v_lshrrev_b32_e32 v1, 3, v17
	s_delay_alu instid0(VALU_DEP_1) | instskip(NEXT) | instid1(VALU_DEP_1)
	v_mul_u32_u24_e32 v1, 24, v1
	v_or_b32_e32 v1, v1, v0
	s_delay_alu instid0(VALU_DEP_1)
	v_lshlrev_b32_e32 v1, 4, v1
	ds_store_b128 v1, v[9:12]
	ds_store_b128 v1, v[64:67] offset:128
	scratch_store_b32 off, v1, off offset:372 ; 4-byte Folded Spill
	ds_store_b128 v1, v[68:71] offset:256
	v_lshrrev_b32_e32 v1, 3, v16
	s_delay_alu instid0(VALU_DEP_1) | instskip(NEXT) | instid1(VALU_DEP_1)
	v_mul_u32_u24_e32 v1, 24, v1
	v_or_b32_e32 v1, v1, v0
	s_delay_alu instid0(VALU_DEP_1)
	v_lshlrev_b32_e32 v1, 4, v1
	ds_store_b128 v1, v[84:87]
	ds_store_b128 v1, v[92:95] offset:128
	scratch_store_b32 off, v1, off offset:364 ; 4-byte Folded Spill
	ds_store_b128 v1, v[96:99] offset:256
	v_and_b32_e32 v1, 0xff, v54
	s_delay_alu instid0(VALU_DEP_1) | instskip(NEXT) | instid1(VALU_DEP_1)
	v_mul_lo_u16 v1, 0xab, v1
	v_lshrrev_b16 v1, 12, v1
	s_delay_alu instid0(VALU_DEP_1) | instskip(SKIP_1) | instid1(VALU_DEP_2)
	v_mul_lo_u16 v4, v1, 24
	v_and_b32_e32 v1, 0xffff, v1
	v_sub_nc_u16 v4, v54, v4
	s_delay_alu instid0(VALU_DEP_2) | instskip(NEXT) | instid1(VALU_DEP_2)
	v_mul_u32_u24_e32 v1, 0x78, v1
	v_and_b32_e32 v0, 0xff, v4
	v_lshlrev_b32_e32 v4, 4, v2
	ds_store_b128 v4, v[80:83]
	ds_store_b128 v4, v[100:103] offset:128
	v_lshlrev_b32_e32 v2, 6, v0
	scratch_store_b32 off, v4, off offset:360 ; 4-byte Folded Spill
	ds_store_b128 v4, v[104:107] offset:256
	ds_store_b128 v3, v[108:111]
	ds_store_b128 v3, v[112:115] offset:128
	scratch_store_b32 off, v3, off offset:352 ; 4-byte Folded Spill
	ds_store_b128 v3, v[116:119] offset:256
	s_waitcnt lgkmcnt(0)
	s_waitcnt_vscnt null, 0x0
	s_barrier
	buffer_gl0_inv
	s_clause 0x1
	global_load_b128 v[68:71], v2, s[2:3] offset:352
	global_load_b128 v[20:23], v2, s[2:3] offset:368
	ds_load_b128 v[80:83], v28 offset:2688
	ds_load_b128 v[3:6], v28 offset:1792
	ds_load_b128 v[7:10], v28 offset:5376
	v_add_lshl_u32 v0, v1, v0, 4
	s_waitcnt vmcnt(1) lgkmcnt(2)
	v_mul_f64 v[11:12], v[82:83], v[70:71]
	v_mul_f64 v[13:14], v[80:81], v[70:71]
	s_waitcnt vmcnt(0)
	scratch_store_b128 off, v[20:23], off offset:252 ; 16-byte Folded Spill
	v_fma_f64 v[26:27], v[80:81], v[68:69], -v[11:12]
	v_fma_f64 v[32:33], v[82:83], v[68:69], v[13:14]
	ds_load_b128 v[11:14], v28 offset:6272
	s_clause 0x1
	global_load_b128 v[108:111], v2, s[2:3] offset:400
	global_load_b128 v[104:107], v2, s[2:3] offset:384
	s_waitcnt lgkmcnt(1)
	v_mul_f64 v[18:19], v[9:10], v[22:23]
	v_and_b32_e32 v2, 0xff, v17
	s_delay_alu instid0(VALU_DEP_1) | instskip(NEXT) | instid1(VALU_DEP_1)
	v_mul_lo_u16 v2, 0xab, v2
	v_lshrrev_b16 v15, 12, v2
	s_delay_alu instid0(VALU_DEP_1) | instskip(NEXT) | instid1(VALU_DEP_1)
	v_mul_lo_u16 v2, v15, 24
	v_sub_nc_u16 v2, v17, v2
	s_delay_alu instid0(VALU_DEP_1) | instskip(NEXT) | instid1(VALU_DEP_1)
	v_and_b32_e32 v29, 0xff, v2
	v_lshlrev_b32_e32 v2, 6, v29
	v_fma_f64 v[35:36], v[7:8], v[20:21], -v[18:19]
	v_mul_f64 v[7:8], v[7:8], v[22:23]
	s_delay_alu instid0(VALU_DEP_1) | instskip(SKIP_4) | instid1(VALU_DEP_1)
	v_fma_f64 v[37:38], v[9:10], v[20:21], v[7:8]
	ds_load_b128 v[7:10], v28 offset:10752
	ds_load_b128 v[18:21], v28 offset:11648
	s_waitcnt vmcnt(1) lgkmcnt(1)
	v_mul_f64 v[22:23], v[9:10], v[110:111]
	v_fma_f64 v[39:40], v[7:8], v[108:109], -v[22:23]
	v_mul_f64 v[7:8], v[7:8], v[110:111]
	s_delay_alu instid0(VALU_DEP_2) | instskip(NEXT) | instid1(VALU_DEP_2)
	v_add_f64 v[92:93], v[26:27], -v[39:40]
	v_fma_f64 v[41:42], v[9:10], v[108:109], v[7:8]
	ds_load_b128 v[7:10], v28 offset:8064
	ds_load_b128 v[22:25], v28 offset:7168
	s_clause 0x1
	global_load_b128 v[120:123], v2, s[2:3] offset:352
	global_load_b128 v[112:115], v2, s[2:3] offset:368
	s_waitcnt vmcnt(2) lgkmcnt(1)
	v_mul_f64 v[43:44], v[9:10], v[106:107]
	s_delay_alu instid0(VALU_DEP_1) | instskip(SKIP_1) | instid1(VALU_DEP_2)
	v_fma_f64 v[43:44], v[7:8], v[104:105], -v[43:44]
	v_mul_f64 v[7:8], v[7:8], v[106:107]
	v_add_f64 v[94:95], v[35:36], -v[43:44]
	s_delay_alu instid0(VALU_DEP_2)
	v_fma_f64 v[45:46], v[9:10], v[104:105], v[7:8]
	ds_load_b128 v[7:10], v28 offset:3584
	ds_load_b128 v[80:83], v28 offset:4480
	s_clause 0x1
	global_load_b128 v[124:127], v2, s[2:3] offset:384
	global_load_b128 v[116:119], v2, s[2:3] offset:400
	v_and_b32_e32 v2, 0xff, v16
	s_delay_alu instid0(VALU_DEP_1) | instskip(NEXT) | instid1(VALU_DEP_1)
	v_mul_lo_u16 v2, 0xab, v2
	v_lshrrev_b16 v30, 12, v2
	s_delay_alu instid0(VALU_DEP_1) | instskip(NEXT) | instid1(VALU_DEP_1)
	v_mul_lo_u16 v2, v30, 24
	v_sub_nc_u16 v2, v16, v2
	s_delay_alu instid0(VALU_DEP_1) | instskip(NEXT) | instid1(VALU_DEP_1)
	v_and_b32_e32 v34, 0xff, v2
	v_lshlrev_b32_e32 v2, 6, v34
	v_add_f64 v[86:87], v[37:38], -v[45:46]
	s_waitcnt vmcnt(3) lgkmcnt(1)
	v_mul_f64 v[47:48], v[9:10], v[122:123]
	s_delay_alu instid0(VALU_DEP_1) | instskip(SKIP_1) | instid1(VALU_DEP_1)
	v_fma_f64 v[47:48], v[7:8], v[120:121], -v[47:48]
	v_mul_f64 v[7:8], v[7:8], v[122:123]
	v_fma_f64 v[49:50], v[9:10], v[120:121], v[7:8]
	s_waitcnt vmcnt(2)
	v_mul_f64 v[7:8], v[13:14], v[114:115]
	s_delay_alu instid0(VALU_DEP_1) | instskip(SKIP_1) | instid1(VALU_DEP_1)
	v_fma_f64 v[51:52], v[11:12], v[112:113], -v[7:8]
	v_mul_f64 v[7:8], v[11:12], v[114:115]
	v_fma_f64 v[100:101], v[13:14], v[112:113], v[7:8]
	ds_load_b128 v[7:10], v28 offset:8960
	ds_load_b128 v[11:14], v28 offset:9856
	s_clause 0x3
	global_load_b128 v[136:139], v2, s[2:3] offset:352
	global_load_b128 v[128:131], v2, s[2:3] offset:368
	;; [unrolled: 1-line block ×4, first 2 shown]
	s_waitcnt vmcnt(5) lgkmcnt(1)
	v_mul_f64 v[84:85], v[9:10], v[126:127]
	s_delay_alu instid0(VALU_DEP_1) | instskip(SKIP_2) | instid1(VALU_DEP_3)
	v_fma_f64 v[102:103], v[7:8], v[124:125], -v[84:85]
	v_mul_f64 v[7:8], v[7:8], v[126:127]
	v_add_f64 v[84:85], v[32:33], -v[41:42]
	v_add_f64 v[150:151], v[51:52], -v[102:103]
	s_delay_alu instid0(VALU_DEP_3) | instskip(SKIP_2) | instid1(VALU_DEP_1)
	v_fma_f64 v[144:145], v[9:10], v[124:125], v[7:8]
	s_waitcnt vmcnt(4)
	v_mul_f64 v[7:8], v[20:21], v[118:119]
	v_fma_f64 v[146:147], v[18:19], v[116:117], -v[7:8]
	v_mul_f64 v[7:8], v[18:19], v[118:119]
	v_add_f64 v[17:18], v[35:36], v[43:44]
	s_delay_alu instid0(VALU_DEP_2) | instskip(SKIP_2) | instid1(VALU_DEP_1)
	v_fma_f64 v[148:149], v[20:21], v[116:117], v[7:8]
	s_waitcnt vmcnt(3)
	v_mul_f64 v[7:8], v[82:83], v[138:139]
	v_fma_f64 v[156:157], v[80:81], v[136:137], -v[7:8]
	v_mul_f64 v[7:8], v[80:81], v[138:139]
	s_delay_alu instid0(VALU_DEP_1) | instskip(SKIP_2) | instid1(VALU_DEP_1)
	v_fma_f64 v[158:159], v[82:83], v[136:137], v[7:8]
	s_waitcnt vmcnt(2)
	v_mul_f64 v[7:8], v[24:25], v[130:131]
	v_fma_f64 v[160:161], v[22:23], v[128:129], -v[7:8]
	v_mul_f64 v[7:8], v[22:23], v[130:131]
	s_delay_alu instid0(VALU_DEP_1) | instskip(SKIP_2) | instid1(VALU_DEP_1)
	v_fma_f64 v[162:163], v[24:25], v[128:129], v[7:8]
	s_waitcnt vmcnt(1) lgkmcnt(0)
	v_mul_f64 v[7:8], v[13:14], v[142:143]
	v_fma_f64 v[164:165], v[11:12], v[140:141], -v[7:8]
	v_mul_f64 v[7:8], v[11:12], v[142:143]
	s_delay_alu instid0(VALU_DEP_1) | instskip(SKIP_3) | instid1(VALU_DEP_1)
	v_fma_f64 v[166:167], v[13:14], v[140:141], v[7:8]
	ds_load_b128 v[7:10], v28 offset:12544
	s_waitcnt vmcnt(0) lgkmcnt(0)
	v_mul_f64 v[11:12], v[9:10], v[134:135]
	v_fma_f64 v[168:169], v[7:8], v[132:133], -v[11:12]
	v_mul_f64 v[7:8], v[7:8], v[134:135]
	s_delay_alu instid0(VALU_DEP_1) | instskip(SKIP_2) | instid1(VALU_DEP_1)
	v_fma_f64 v[170:171], v[9:10], v[132:133], v[7:8]
	v_add_f64 v[7:8], v[26:27], -v[35:36]
	v_add_f64 v[9:10], v[39:40], -v[43:44]
	v_add_f64 v[21:22], v[7:8], v[9:10]
	v_add_f64 v[7:8], v[32:33], -v[37:38]
	v_add_f64 v[9:10], v[41:42], -v[45:46]
	s_delay_alu instid0(VALU_DEP_1)
	v_add_f64 v[23:24], v[7:8], v[9:10]
	ds_load_b128 v[7:10], v28
	ds_load_b128 v[11:14], v28 offset:896
	s_waitcnt lgkmcnt(0)
	s_waitcnt_vscnt null, 0x0
	s_barrier
	buffer_gl0_inv
	v_fma_f64 v[80:81], v[17:18], -0.5, v[7:8]
	v_add_f64 v[17:18], v[37:38], v[45:46]
	s_delay_alu instid0(VALU_DEP_1) | instskip(NEXT) | instid1(VALU_DEP_3)
	v_fma_f64 v[82:83], v[17:18], -0.5, v[9:10]
	v_fma_f64 v[17:18], v[84:85], s[12:13], v[80:81]
	v_fma_f64 v[80:81], v[84:85], s[14:15], v[80:81]
	s_delay_alu instid0(VALU_DEP_3) | instskip(SKIP_1) | instid1(VALU_DEP_4)
	v_fma_f64 v[19:20], v[92:93], s[14:15], v[82:83]
	v_fma_f64 v[82:83], v[92:93], s[12:13], v[82:83]
	;; [unrolled: 1-line block ×3, first 2 shown]
	s_delay_alu instid0(VALU_DEP_4) | instskip(NEXT) | instid1(VALU_DEP_4)
	v_fma_f64 v[80:81], v[86:87], s[10:11], v[80:81]
	v_fma_f64 v[19:20], v[94:95], s[10:11], v[19:20]
	s_delay_alu instid0(VALU_DEP_4) | instskip(NEXT) | instid1(VALU_DEP_4)
	v_fma_f64 v[82:83], v[94:95], s[0:1], v[82:83]
	v_fma_f64 v[17:18], v[21:22], s[16:17], v[17:18]
	s_delay_alu instid0(VALU_DEP_4) | instskip(SKIP_4) | instid1(VALU_DEP_4)
	v_fma_f64 v[21:22], v[21:22], s[16:17], v[80:81]
	v_add_f64 v[80:81], v[26:27], v[39:40]
	v_fma_f64 v[19:20], v[23:24], s[16:17], v[19:20]
	v_fma_f64 v[23:24], v[23:24], s[16:17], v[82:83]
	v_add_f64 v[82:83], v[32:33], v[41:42]
	v_fma_f64 v[80:81], v[80:81], -0.5, v[7:8]
	v_add_f64 v[7:8], v[7:8], v[26:27]
	v_add_f64 v[25:26], v[35:36], -v[26:27]
	s_delay_alu instid0(VALU_DEP_4) | instskip(SKIP_4) | instid1(VALU_DEP_4)
	v_fma_f64 v[82:83], v[82:83], -0.5, v[9:10]
	v_add_f64 v[9:10], v[9:10], v[32:33]
	v_add_f64 v[32:33], v[37:38], -v[32:33]
	v_add_f64 v[7:8], v[7:8], v[35:36]
	v_add_f64 v[35:36], v[43:44], -v[39:40]
	;; [unrolled: 2-line block ×3, first 2 shown]
	s_delay_alu instid0(VALU_DEP_4)
	v_add_f64 v[7:8], v[7:8], v[43:44]
	v_fma_f64 v[43:44], v[94:95], s[12:13], v[82:83]
	v_add_f64 v[25:26], v[25:26], v[35:36]
	v_add_f64 v[9:10], v[9:10], v[45:46]
	v_fma_f64 v[45:46], v[94:95], s[14:15], v[82:83]
	v_add_f64 v[7:8], v[7:8], v[39:40]
	v_fma_f64 v[39:40], v[86:87], s[14:15], v[80:81]
	v_add_f64 v[32:33], v[32:33], v[37:38]
	v_add_f64 v[9:10], v[9:10], v[41:42]
	v_fma_f64 v[41:42], v[86:87], s[12:13], v[80:81]
	s_delay_alu instid0(VALU_DEP_4) | instskip(SKIP_1) | instid1(VALU_DEP_3)
	v_fma_f64 v[35:36], v[84:85], s[0:1], v[39:40]
	v_fma_f64 v[39:40], v[92:93], s[10:11], v[43:44]
	v_fma_f64 v[37:38], v[84:85], s[10:11], v[41:42]
	v_fma_f64 v[41:42], v[92:93], s[0:1], v[45:46]
	s_delay_alu instid0(VALU_DEP_4) | instskip(NEXT) | instid1(VALU_DEP_4)
	v_fma_f64 v[80:81], v[25:26], s[16:17], v[35:36]
	v_fma_f64 v[82:83], v[32:33], s[16:17], v[39:40]
	v_add_f64 v[35:36], v[148:149], -v[144:145]
	v_add_f64 v[39:40], v[49:50], -v[148:149]
	;; [unrolled: 1-line block ×3, first 2 shown]
	v_fma_f64 v[84:85], v[25:26], s[16:17], v[37:38]
	v_fma_f64 v[86:87], v[32:33], s[16:17], v[41:42]
	v_add_f64 v[25:26], v[47:48], -v[51:52]
	v_add_f64 v[32:33], v[146:147], -v[102:103]
	v_add_f64 v[37:38], v[100:101], v[144:145]
	v_add_f64 v[41:42], v[100:101], -v[144:145]
	ds_store_b128 v0, v[7:10]
	ds_store_b128 v0, v[17:20] offset:384
	ds_store_b128 v0, v[80:83] offset:768
	;; [unrolled: 1-line block ×3, first 2 shown]
	scratch_store_b32 off, v0, off offset:380 ; 4-byte Folded Spill
	ds_store_b128 v0, v[21:24] offset:1536
	v_and_b32_e32 v0, 0xffff, v15
	v_add_f64 v[25:26], v[25:26], v[32:33]
	v_add_f64 v[32:33], v[49:50], -v[100:101]
	v_fma_f64 v[37:38], v[37:38], -0.5, v[13:14]
	s_delay_alu instid0(VALU_DEP_4) | instskip(NEXT) | instid1(VALU_DEP_1)
	v_mul_u32_u24_e32 v0, 0x78, v0
	v_add_lshl_u32 v0, v0, v29, 4
	s_delay_alu instid0(VALU_DEP_4) | instskip(SKIP_3) | instid1(VALU_DEP_3)
	v_add_f64 v[32:33], v[32:33], v[35:36]
	v_add_f64 v[35:36], v[51:52], v[102:103]
	v_fma_f64 v[92:93], v[45:46], s[14:15], v[37:38]
	v_fma_f64 v[37:38], v[45:46], s[12:13], v[37:38]
	v_fma_f64 v[35:36], v[35:36], -0.5, v[11:12]
	s_delay_alu instid0(VALU_DEP_3) | instskip(NEXT) | instid1(VALU_DEP_3)
	v_fma_f64 v[94:95], v[150:151], s[10:11], v[92:93]
	v_fma_f64 v[37:38], v[150:151], s[0:1], v[37:38]
	s_delay_alu instid0(VALU_DEP_3) | instskip(SKIP_1) | instid1(VALU_DEP_4)
	v_fma_f64 v[43:44], v[39:40], s[12:13], v[35:36]
	v_fma_f64 v[35:36], v[39:40], s[14:15], v[35:36]
	;; [unrolled: 1-line block ×3, first 2 shown]
	s_delay_alu instid0(VALU_DEP_4) | instskip(SKIP_4) | instid1(VALU_DEP_4)
	v_fma_f64 v[98:99], v[32:33], s[16:17], v[37:38]
	v_add_f64 v[32:33], v[49:50], v[148:149]
	v_add_f64 v[37:38], v[100:101], -v[49:50]
	v_fma_f64 v[43:44], v[41:42], s[0:1], v[43:44]
	v_fma_f64 v[35:36], v[41:42], s[10:11], v[35:36]
	v_fma_f64 v[32:33], v[32:33], -0.5, v[13:14]
	v_add_f64 v[13:14], v[13:14], v[49:50]
	s_delay_alu instid0(VALU_DEP_4) | instskip(NEXT) | instid1(VALU_DEP_4)
	v_fma_f64 v[92:93], v[25:26], s[16:17], v[43:44]
	v_fma_f64 v[96:97], v[25:26], s[16:17], v[35:36]
	v_add_f64 v[25:26], v[47:48], v[146:147]
	v_add_f64 v[35:36], v[51:52], -v[47:48]
	v_add_f64 v[43:44], v[102:103], -v[146:147]
	v_add_f64 v[13:14], v[13:14], v[100:101]
	s_delay_alu instid0(VALU_DEP_4)
	v_fma_f64 v[25:26], v[25:26], -0.5, v[11:12]
	v_add_f64 v[11:12], v[11:12], v[47:48]
	v_add_f64 v[47:48], v[144:145], -v[148:149]
	v_add_f64 v[35:36], v[35:36], v[43:44]
	v_add_f64 v[13:14], v[13:14], v[144:145]
	v_fma_f64 v[49:50], v[41:42], s[14:15], v[25:26]
	v_add_f64 v[11:12], v[11:12], v[51:52]
	v_fma_f64 v[25:26], v[41:42], s[12:13], v[25:26]
	v_fma_f64 v[41:42], v[150:151], s[12:13], v[32:33]
	;; [unrolled: 1-line block ×3, first 2 shown]
	v_add_f64 v[37:38], v[37:38], v[47:48]
	v_add_f64 v[47:48], v[156:157], -v[168:169]
	v_add_f64 v[13:14], v[13:14], v[148:149]
	v_fma_f64 v[43:44], v[39:40], s[0:1], v[49:50]
	v_add_f64 v[11:12], v[11:12], v[102:103]
	v_fma_f64 v[25:26], v[39:40], s[10:11], v[25:26]
	v_fma_f64 v[39:40], v[45:46], s[10:11], v[41:42]
	;; [unrolled: 1-line block ×3, first 2 shown]
	v_add_f64 v[45:46], v[160:161], -v[164:165]
	v_add_f64 v[41:42], v[158:159], -v[170:171]
	v_fma_f64 v[100:101], v[35:36], s[16:17], v[43:44]
	v_add_f64 v[11:12], v[11:12], v[146:147]
	v_fma_f64 v[144:145], v[35:36], s[16:17], v[25:26]
	v_add_f64 v[25:26], v[160:161], -v[156:157]
	v_fma_f64 v[146:147], v[37:38], s[16:17], v[32:33]
	v_add_f64 v[32:33], v[164:165], -v[168:169]
	v_add_f64 v[35:36], v[166:167], -v[170:171]
	v_fma_f64 v[102:103], v[37:38], s[16:17], v[39:40]
	v_add_f64 v[37:38], v[158:159], v[170:171]
	v_add_f64 v[39:40], v[162:163], -v[166:167]
	ds_store_b128 v0, v[11:14]
	ds_store_b128 v0, v[92:95] offset:384
	ds_store_b128 v0, v[100:103] offset:768
	;; [unrolled: 1-line block ×3, first 2 shown]
	v_add_f64 v[25:26], v[25:26], v[32:33]
	v_add_f64 v[32:33], v[162:163], -v[158:159]
	v_fma_f64 v[37:38], v[37:38], -0.5, v[5:6]
	scratch_store_b32 off, v0, off offset:368 ; 4-byte Folded Spill
	ds_store_b128 v0, v[96:99] offset:1536
	v_and_b32_e32 v0, 0xffff, v30
                                        ; implicit-def: $vgpr92_vgpr93
                                        ; implicit-def: $vgpr96_vgpr97
                                        ; implicit-def: $vgpr100_vgpr101
	s_delay_alu instid0(VALU_DEP_1) | instskip(NEXT) | instid1(VALU_DEP_1)
	v_mul_u32_u24_e32 v0, 0x78, v0
	v_add_lshl_u32 v0, v0, v34, 4
	v_add_f64 v[32:33], v[32:33], v[35:36]
	v_add_f64 v[35:36], v[156:157], v[168:169]
	v_fma_f64 v[49:50], v[45:46], s[12:13], v[37:38]
	v_fma_f64 v[37:38], v[45:46], s[14:15], v[37:38]
	s_delay_alu instid0(VALU_DEP_3) | instskip(NEXT) | instid1(VALU_DEP_3)
	v_fma_f64 v[35:36], v[35:36], -0.5, v[3:4]
	v_fma_f64 v[49:50], v[47:48], s[10:11], v[49:50]
	s_delay_alu instid0(VALU_DEP_3) | instskip(NEXT) | instid1(VALU_DEP_3)
	v_fma_f64 v[37:38], v[47:48], s[0:1], v[37:38]
	v_fma_f64 v[43:44], v[39:40], s[14:15], v[35:36]
	;; [unrolled: 1-line block ×3, first 2 shown]
	s_delay_alu instid0(VALU_DEP_4) | instskip(NEXT) | instid1(VALU_DEP_4)
	v_fma_f64 v[150:151], v[32:33], s[16:17], v[49:50]
	v_fma_f64 v[154:155], v[32:33], s[16:17], v[37:38]
	v_add_f64 v[32:33], v[162:163], v[166:167]
	v_add_f64 v[37:38], v[158:159], -v[162:163]
	v_add_f64 v[49:50], v[170:171], -v[166:167]
	v_fma_f64 v[43:44], v[41:42], s[0:1], v[43:44]
	v_fma_f64 v[35:36], v[41:42], s[10:11], v[35:36]
	v_fma_f64 v[32:33], v[32:33], -0.5, v[5:6]
	s_delay_alu instid0(VALU_DEP_4) | instskip(NEXT) | instid1(VALU_DEP_4)
	v_add_f64 v[37:38], v[37:38], v[49:50]
	v_fma_f64 v[148:149], v[25:26], s[16:17], v[43:44]
	s_delay_alu instid0(VALU_DEP_4) | instskip(SKIP_3) | instid1(VALU_DEP_3)
	v_fma_f64 v[152:153], v[25:26], s[16:17], v[35:36]
	v_add_f64 v[25:26], v[160:161], v[164:165]
	v_add_f64 v[35:36], v[156:157], -v[160:161]
	v_add_f64 v[43:44], v[168:169], -v[164:165]
	v_fma_f64 v[25:26], v[25:26], -0.5, v[3:4]
	v_add_f64 v[2:3], v[3:4], v[156:157]
	v_add_f64 v[4:5], v[5:6], v[158:159]
	s_delay_alu instid0(VALU_DEP_4) | instskip(NEXT) | instid1(VALU_DEP_4)
	v_add_f64 v[35:36], v[35:36], v[43:44]
	v_fma_f64 v[51:52], v[41:42], s[12:13], v[25:26]
	s_delay_alu instid0(VALU_DEP_4) | instskip(NEXT) | instid1(VALU_DEP_4)
	v_add_f64 v[2:3], v[2:3], v[160:161]
	v_add_f64 v[4:5], v[4:5], v[162:163]
	v_fma_f64 v[25:26], v[41:42], s[14:15], v[25:26]
	v_fma_f64 v[41:42], v[47:48], s[14:15], v[32:33]
	;; [unrolled: 1-line block ×4, first 2 shown]
	v_add_f64 v[2:3], v[2:3], v[164:165]
	v_add_f64 v[4:5], v[4:5], v[166:167]
	v_fma_f64 v[25:26], v[39:40], s[10:11], v[25:26]
	v_fma_f64 v[39:40], v[45:46], s[10:11], v[41:42]
	;; [unrolled: 1-line block ×3, first 2 shown]
	v_cmp_gt_u16_e64 s0, 8, v54
	v_fma_f64 v[156:157], v[35:36], s[16:17], v[43:44]
	v_add_f64 v[2:3], v[2:3], v[168:169]
	v_add_f64 v[4:5], v[4:5], v[170:171]
	v_fma_f64 v[192:193], v[35:36], s[16:17], v[25:26]
	v_fma_f64 v[158:159], v[37:38], s[16:17], v[39:40]
	;; [unrolled: 1-line block ×3, first 2 shown]
	ds_store_b128 v0, v[2:5]
	ds_store_b128 v0, v[156:159] offset:384
	ds_store_b128 v0, v[148:151] offset:768
	;; [unrolled: 1-line block ×3, first 2 shown]
	scratch_store_b32 off, v0, off offset:356 ; 4-byte Folded Spill
	ds_store_b128 v0, v[192:195] offset:1536
	s_waitcnt lgkmcnt(0)
	s_waitcnt_vscnt null, 0x0
	s_barrier
	buffer_gl0_inv
	ds_load_b128 v[200:203], v28
	ds_load_b128 v[196:199], v28 offset:896
	ds_load_b128 v[160:163], v28 offset:1920
	;; [unrolled: 1-line block ×13, first 2 shown]
	s_and_saveexec_b32 s1, s0
	s_cbranch_execz .LBB0_17
; %bb.16:
	ds_load_b128 v[192:195], v28 offset:1792
	ds_load_b128 v[88:91], v28 offset:3712
	;; [unrolled: 1-line block ×7, first 2 shown]
.LBB0_17:
	s_or_b32 exec_lo, exec_lo, s1
	v_mad_u64_u32 v[0:1], null, 0x60, v54, s[2:3]
	s_mov_b32 s16, 0xe976ee23
	s_mov_b32 s17, 0xbfe11646
	s_mov_b32 s10, 0x429ad128
	s_mov_b32 s11, 0x3febfeb5
	s_mov_b32 s12, 0xaaaaaaaa
	s_mov_b32 s14, 0x5476071b
	s_clause 0x1
	global_load_b128 v[144:147], v[0:1], off offset:1888
	global_load_b128 v[148:151], v[0:1], off offset:1904
	v_add_co_u32 v17, s1, 0x1500, v0
	s_delay_alu instid0(VALU_DEP_1)
	v_add_co_ci_u32_e64 v18, s1, 0, v1, s1
	s_mov_b32 s18, 0x37c3f68c
	s_mov_b32 s13, 0xbff2aaaa
	;; [unrolled: 1-line block ×12, first 2 shown]
	s_waitcnt vmcnt(1) lgkmcnt(11)
	v_mul_f64 v[2:3], v[162:163], v[146:147]
	s_delay_alu instid0(VALU_DEP_1) | instskip(SKIP_1) | instid1(VALU_DEP_1)
	v_fma_f64 v[240:241], v[160:161], v[144:145], -v[2:3]
	v_mul_f64 v[2:3], v[160:161], v[146:147]
	v_fma_f64 v[242:243], v[162:163], v[144:145], v[2:3]
	s_waitcnt vmcnt(0) lgkmcnt(9)
	v_mul_f64 v[2:3], v[158:159], v[150:151]
	s_delay_alu instid0(VALU_DEP_1) | instskip(SKIP_1) | instid1(VALU_DEP_1)
	v_fma_f64 v[244:245], v[156:157], v[148:149], -v[2:3]
	v_mul_f64 v[2:3], v[156:157], v[150:151]
	v_fma_f64 v[246:247], v[158:159], v[148:149], v[2:3]
	s_clause 0x1
	global_load_b128 v[156:159], v[0:1], off offset:1968
	global_load_b128 v[160:163], v[0:1], off offset:1952
	s_waitcnt vmcnt(1) lgkmcnt(1)
	v_mul_f64 v[2:3], v[166:167], v[158:159]
	s_delay_alu instid0(VALU_DEP_1) | instskip(SKIP_1) | instid1(VALU_DEP_2)
	v_fma_f64 v[248:249], v[164:165], v[156:157], -v[2:3]
	v_mul_f64 v[2:3], v[164:165], v[158:159]
	v_add_f64 v[44:45], v[240:241], v[248:249]
	s_delay_alu instid0(VALU_DEP_2) | instskip(SKIP_3) | instid1(VALU_DEP_3)
	v_fma_f64 v[250:251], v[166:167], v[156:157], v[2:3]
	s_waitcnt vmcnt(0)
	v_mul_f64 v[2:3], v[154:155], v[162:163]
	v_add_f64 v[240:241], v[240:241], -v[248:249]
	v_add_f64 v[52:53], v[242:243], v[250:251]
	s_delay_alu instid0(VALU_DEP_3) | instskip(SKIP_2) | instid1(VALU_DEP_3)
	v_fma_f64 v[252:253], v[152:153], v[160:161], -v[2:3]
	v_mul_f64 v[2:3], v[152:153], v[162:163]
	v_add_f64 v[242:243], v[242:243], -v[250:251]
	v_add_f64 v[46:47], v[244:245], v[252:253]
	s_delay_alu instid0(VALU_DEP_3)
	v_fma_f64 v[254:255], v[154:155], v[160:161], v[2:3]
	s_clause 0x1
	global_load_b128 v[152:155], v[0:1], off offset:1920
	global_load_b128 v[164:167], v[0:1], off offset:1936
	s_waitcnt vmcnt(1)
	v_mul_f64 v[2:3], v[174:175], v[154:155]
	s_delay_alu instid0(VALU_DEP_1) | instskip(SKIP_1) | instid1(VALU_DEP_1)
	v_fma_f64 v[22:23], v[172:173], v[152:153], -v[2:3]
	v_mul_f64 v[2:3], v[172:173], v[154:155]
	v_fma_f64 v[20:21], v[174:175], v[152:153], v[2:3]
	s_waitcnt vmcnt(0)
	v_mul_f64 v[2:3], v[170:171], v[166:167]
	s_delay_alu instid0(VALU_DEP_1) | instskip(SKIP_1) | instid1(VALU_DEP_2)
	v_fma_f64 v[26:27], v[168:169], v[164:165], -v[2:3]
	v_mul_f64 v[2:3], v[168:169], v[166:167]
	v_add_f64 v[48:49], v[22:23], v[26:27]
	s_delay_alu instid0(VALU_DEP_2)
	v_fma_f64 v[24:25], v[170:171], v[164:165], v[2:3]
	s_clause 0x1
	global_load_b128 v[168:171], v[17:18], off offset:1888
	global_load_b128 v[172:175], v[17:18], off offset:1904
	s_waitcnt vmcnt(1)
	v_mul_f64 v[0:1], v[186:187], v[170:171]
	v_mul_f64 v[2:3], v[184:185], v[170:171]
	s_waitcnt vmcnt(0)
	v_mul_f64 v[4:5], v[182:183], v[174:175]
	v_mul_f64 v[6:7], v[180:181], v[174:175]
	s_delay_alu instid0(VALU_DEP_4) | instskip(NEXT) | instid1(VALU_DEP_4)
	v_fma_f64 v[0:1], v[184:185], v[168:169], -v[0:1]
	v_fma_f64 v[2:3], v[186:187], v[168:169], v[2:3]
	s_delay_alu instid0(VALU_DEP_4) | instskip(NEXT) | instid1(VALU_DEP_4)
	v_fma_f64 v[4:5], v[180:181], v[172:173], -v[4:5]
	v_fma_f64 v[6:7], v[182:183], v[172:173], v[6:7]
	s_clause 0x1
	global_load_b128 v[180:183], v[17:18], off offset:1968
	global_load_b128 v[184:187], v[17:18], off offset:1952
	s_waitcnt vmcnt(1) lgkmcnt(0)
	v_mul_f64 v[8:9], v[190:191], v[182:183]
	v_mul_f64 v[10:11], v[188:189], v[182:183]
	s_waitcnt vmcnt(0)
	v_mul_f64 v[12:13], v[178:179], v[186:187]
	v_mul_f64 v[14:15], v[176:177], v[186:187]
	s_delay_alu instid0(VALU_DEP_4) | instskip(NEXT) | instid1(VALU_DEP_4)
	v_fma_f64 v[8:9], v[188:189], v[180:181], -v[8:9]
	v_fma_f64 v[10:11], v[190:191], v[180:181], v[10:11]
	s_delay_alu instid0(VALU_DEP_4) | instskip(NEXT) | instid1(VALU_DEP_4)
	v_fma_f64 v[12:13], v[176:177], v[184:185], -v[12:13]
	v_fma_f64 v[14:15], v[178:179], v[184:185], v[14:15]
	s_clause 0x1
	global_load_b128 v[176:179], v[17:18], off offset:1920
	global_load_b128 v[188:191], v[17:18], off offset:1936
	scratch_store_b32 off, v54, off offset:16 ; 4-byte Folded Spill
	s_waitcnt vmcnt(1)
	v_mul_f64 v[17:18], v[86:87], v[178:179]
	s_delay_alu instid0(VALU_DEP_1) | instskip(SKIP_1) | instid1(VALU_DEP_1)
	v_fma_f64 v[234:235], v[84:85], v[176:177], -v[17:18]
	v_mul_f64 v[17:18], v[84:85], v[178:179]
	v_fma_f64 v[232:233], v[86:87], v[176:177], v[17:18]
	s_waitcnt vmcnt(0)
	v_mul_f64 v[17:18], v[82:83], v[190:191]
	s_delay_alu instid0(VALU_DEP_1) | instskip(SKIP_3) | instid1(VALU_DEP_3)
	v_fma_f64 v[238:239], v[80:81], v[188:189], -v[17:18]
	v_mul_f64 v[17:18], v[80:81], v[190:191]
	v_add_f64 v[80:81], v[2:3], v[10:11]
	v_add_f64 v[10:11], v[2:3], -v[10:11]
	v_fma_f64 v[236:237], v[82:83], v[188:189], v[17:18]
	v_add_nc_u32_e32 v17, -8, v54
	v_add_f64 v[82:83], v[6:7], v[14:15]
	v_add_f64 v[6:7], v[6:7], -v[14:15]
	s_delay_alu instid0(VALU_DEP_3) | instskip(NEXT) | instid1(VALU_DEP_1)
	v_cndmask_b32_e64 v16, v17, v16, s0
	v_mul_i32_i24_e32 v17, 0x60, v16
	v_mul_hi_i32_i24_e32 v16, 0x60, v16
	s_delay_alu instid0(VALU_DEP_2) | instskip(NEXT) | instid1(VALU_DEP_1)
	v_add_co_u32 v36, s1, s2, v17
	v_add_co_ci_u32_e64 v37, s1, s3, v16, s1
	s_clause 0x1
	global_load_b128 v[32:35], v[36:37], off offset:1888
	global_load_b128 v[40:43], v[36:37], off offset:1904
	s_mov_b32 s2, 0x36b3c0b5
	s_mov_b32 s3, 0x3fac98ee
	v_add_f64 v[84:85], v[232:233], v[236:237]
	v_add_f64 v[14:15], v[236:237], -v[232:233]
	s_waitcnt vmcnt(1)
	v_mul_f64 v[16:17], v[90:91], v[34:35]
	s_waitcnt vmcnt(0)
	v_mul_f64 v[38:39], v[94:95], v[42:43]
	s_clause 0x1
	scratch_store_b128 off, v[32:35], off offset:396
	scratch_store_b128 off, v[40:43], off offset:412
	v_fma_f64 v[18:19], v[88:89], v[32:33], -v[16:17]
	v_mul_f64 v[16:17], v[88:89], v[34:35]
	v_fma_f64 v[218:219], v[92:93], v[40:41], -v[38:39]
	v_mul_f64 v[38:39], v[92:93], v[42:43]
	s_delay_alu instid0(VALU_DEP_3) | instskip(NEXT) | instid1(VALU_DEP_2)
	v_fma_f64 v[16:17], v[90:91], v[32:33], v[16:17]
	v_fma_f64 v[216:217], v[94:95], v[40:41], v[38:39]
	s_clause 0x1
	global_load_b128 v[32:35], v[36:37], off offset:1968
	global_load_b128 v[40:43], v[36:37], off offset:1952
	s_waitcnt vmcnt(1)
	v_mul_f64 v[38:39], v[102:103], v[34:35]
	scratch_store_b128 off, v[32:35], off offset:428 ; 16-byte Folded Spill
	s_waitcnt vmcnt(0)
	scratch_store_b128 off, v[40:43], off offset:444 ; 16-byte Folded Spill
	v_fma_f64 v[222:223], v[100:101], v[32:33], -v[38:39]
	v_mul_f64 v[38:39], v[100:101], v[34:35]
	s_delay_alu instid0(VALU_DEP_1) | instskip(SKIP_1) | instid1(VALU_DEP_2)
	v_fma_f64 v[220:221], v[102:103], v[32:33], v[38:39]
	v_mul_f64 v[38:39], v[98:99], v[42:43]
	v_add_f64 v[92:93], v[16:17], v[220:221]
	s_delay_alu instid0(VALU_DEP_2) | instskip(SKIP_2) | instid1(VALU_DEP_2)
	v_fma_f64 v[226:227], v[96:97], v[40:41], -v[38:39]
	v_mul_f64 v[38:39], v[96:97], v[42:43]
	v_add_f64 v[16:17], v[16:17], -v[220:221]
	v_fma_f64 v[224:225], v[98:99], v[40:41], v[38:39]
	s_clause 0x1
	global_load_b128 v[32:35], v[36:37], off offset:1920
	global_load_b128 v[38:41], v[36:37], off offset:1936
	v_add_f64 v[94:95], v[216:217], v[224:225]
	s_delay_alu instid0(VALU_DEP_1)
	v_add_f64 v[98:99], v[94:95], v[92:93]
	s_waitcnt vmcnt(1)
	v_mul_f64 v[36:37], v[206:207], v[34:35]
	scratch_store_b128 off, v[32:35], off offset:460 ; 16-byte Folded Spill
	s_waitcnt vmcnt(0)
	scratch_store_b128 off, v[38:41], off offset:476 ; 16-byte Folded Spill
	v_fma_f64 v[228:229], v[204:205], v[32:33], -v[36:37]
	v_mul_f64 v[36:37], v[204:205], v[34:35]
	v_add_f64 v[34:35], v[234:235], v[238:239]
	s_delay_alu instid0(VALU_DEP_2) | instskip(SKIP_1) | instid1(VALU_DEP_1)
	v_fma_f64 v[204:205], v[206:207], v[32:33], v[36:37]
	v_mul_f64 v[36:37], v[210:211], v[40:41]
	v_fma_f64 v[230:231], v[208:209], v[38:39], -v[36:37]
	v_mul_f64 v[36:37], v[208:209], v[40:41]
	v_add_f64 v[208:209], v[246:247], v[254:255]
	s_delay_alu instid0(VALU_DEP_3) | instskip(NEXT) | instid1(VALU_DEP_3)
	v_add_f64 v[88:89], v[228:229], v[230:231]
	v_fma_f64 v[206:207], v[210:211], v[38:39], v[36:37]
	v_add_f64 v[36:37], v[46:47], v[44:45]
	v_add_f64 v[210:211], v[20:21], v[24:25]
	v_add_f64 v[248:249], v[208:209], -v[52:53]
	s_delay_alu instid0(VALU_DEP_4) | instskip(NEXT) | instid1(VALU_DEP_4)
	v_add_f64 v[96:97], v[204:205], v[206:207]
	v_add_f64 v[50:51], v[48:49], v[36:37]
	;; [unrolled: 1-line block ×3, first 2 shown]
	v_add_f64 v[208:209], v[210:211], -v[208:209]
	s_delay_alu instid0(VALU_DEP_4) | instskip(NEXT) | instid1(VALU_DEP_3)
	v_add_f64 v[98:99], v[96:97], v[98:99]
	v_add_f64 v[54:55], v[210:211], v[36:37]
	;; [unrolled: 1-line block ×4, first 2 shown]
	v_add_f64 v[8:9], v[0:1], -v[8:9]
	v_add_f64 v[214:215], v[194:195], v[98:99]
	v_add_f64 v[194:195], v[26:27], -v[22:23]
	v_add_f64 v[38:39], v[202:203], v[54:55]
	v_add_f64 v[202:203], v[4:5], v[12:13]
	v_add_f64 v[22:23], v[246:247], -v[254:255]
	v_add_f64 v[246:247], v[46:47], -v[44:45]
	;; [unrolled: 1-line block ×3, first 2 shown]
	v_fma_f64 v[50:51], v[50:51], s[12:13], v[36:37]
	v_add_f64 v[4:5], v[4:5], -v[12:13]
	v_add_f64 v[12:13], v[238:239], -v[234:235]
	v_fma_f64 v[54:55], v[54:55], s[12:13], v[38:39]
	v_add_f64 v[40:41], v[202:203], v[200:201]
	s_delay_alu instid0(VALU_DEP_3) | instskip(SKIP_1) | instid1(VALU_DEP_3)
	v_add_f64 v[2:3], v[12:13], -v[4:5]
	v_add_f64 v[0:1], v[12:13], v[4:5]
	v_add_f64 v[32:33], v[34:35], v[40:41]
	;; [unrolled: 1-line block ×3, first 2 shown]
	s_delay_alu instid0(VALU_DEP_1) | instskip(NEXT) | instid1(VALU_DEP_3)
	v_add_f64 v[86:87], v[84:85], v[40:41]
	v_add_f64 v[40:41], v[196:197], v[32:33]
	;; [unrolled: 1-line block ×3, first 2 shown]
	v_add_f64 v[18:19], v[18:19], -v[222:223]
	s_delay_alu instid0(VALU_DEP_4) | instskip(SKIP_2) | instid1(VALU_DEP_3)
	v_add_f64 v[42:43], v[198:199], v[86:87]
	v_add_f64 v[198:199], v[218:219], v[226:227]
	v_fma_f64 v[32:33], v[32:33], s[12:13], v[40:41]
	v_fma_f64 v[86:87], v[86:87], s[12:13], v[42:43]
	s_delay_alu instid0(VALU_DEP_3) | instskip(NEXT) | instid1(VALU_DEP_1)
	v_add_f64 v[90:91], v[198:199], v[196:197]
	v_add_f64 v[90:91], v[88:89], v[90:91]
	s_delay_alu instid0(VALU_DEP_1) | instskip(SKIP_3) | instid1(VALU_DEP_3)
	v_add_f64 v[212:213], v[192:193], v[90:91]
	v_add_f64 v[192:193], v[244:245], -v[252:253]
	v_add_f64 v[244:245], v[24:25], -v[20:21]
	v_add_f64 v[252:253], v[22:23], -v[242:243]
	v_add_f64 v[24:25], v[194:195], -v[192:193]
	v_add_f64 v[20:21], v[194:195], v[192:193]
	v_add_f64 v[192:193], v[192:193], -v[240:241]
	v_add_f64 v[26:27], v[244:245], -v[22:23]
	v_add_f64 v[250:251], v[244:245], v[22:23]
	v_mul_f64 v[22:23], v[208:209], s[2:3]
	v_mul_f64 v[66:67], v[252:253], s[10:11]
	;; [unrolled: 1-line block ×3, first 2 shown]
	v_add_f64 v[102:103], v[20:21], v[240:241]
	v_mul_f64 v[20:21], v[46:47], s[2:3]
	v_mul_f64 v[100:101], v[26:27], s[16:17]
	v_add_f64 v[250:251], v[250:251], v[242:243]
	v_fma_f64 v[22:23], v[248:249], s[14:15], -v[22:23]
	v_fma_f64 v[24:25], v[192:193], s[10:11], -v[254:255]
	v_fma_f64 v[20:21], v[246:247], s[14:15], -v[20:21]
	s_delay_alu instid0(VALU_DEP_3) | instskip(NEXT) | instid1(VALU_DEP_3)
	v_add_f64 v[64:65], v[22:23], v[54:55]
	v_fma_f64 v[26:27], v[102:103], s[18:19], v[24:25]
	v_fma_f64 v[24:25], v[252:253], s[10:11], -v[100:101]
	s_delay_alu instid0(VALU_DEP_4) | instskip(NEXT) | instid1(VALU_DEP_3)
	v_add_f64 v[29:30], v[20:21], v[50:51]
	v_add_f64 v[22:23], v[26:27], v[64:65]
	s_delay_alu instid0(VALU_DEP_3) | instskip(SKIP_2) | instid1(VALU_DEP_3)
	v_fma_f64 v[24:25], v[250:251], s[18:19], v[24:25]
	v_add_f64 v[26:27], v[64:65], -v[26:27]
	v_mul_f64 v[64:65], v[192:193], s[10:11]
	v_add_f64 v[20:21], v[29:30], -v[24:25]
	v_add_f64 v[24:25], v[24:25], v[29:30]
	v_add_f64 v[29:30], v[44:45], -v[48:49]
	v_add_f64 v[44:45], v[52:53], -v[210:211]
	;; [unrolled: 1-line block ×4, first 2 shown]
	s_delay_alu instid0(VALU_DEP_4) | instskip(NEXT) | instid1(VALU_DEP_4)
	v_mul_f64 v[29:30], v[29:30], s[22:23]
	v_mul_f64 v[44:45], v[44:45], s[22:23]
	s_delay_alu instid0(VALU_DEP_4) | instskip(NEXT) | instid1(VALU_DEP_4)
	v_fma_f64 v[64:65], v[48:49], s[26:27], -v[64:65]
	v_fma_f64 v[66:67], v[52:53], s[26:27], -v[66:67]
	v_fma_f64 v[48:49], v[48:49], s[20:21], v[254:255]
	v_fma_f64 v[52:53], v[52:53], s[20:21], v[100:101]
	v_fma_f64 v[192:193], v[246:247], s[24:25], -v[29:30]
	v_fma_f64 v[194:195], v[248:249], s[24:25], -v[44:45]
	v_fma_f64 v[44:45], v[208:209], s[2:3], v[44:45]
	v_fma_f64 v[66:67], v[250:251], s[18:19], v[66:67]
	;; [unrolled: 1-line block ×6, first 2 shown]
	v_add_f64 v[52:53], v[14:15], v[6:7]
	v_add_f64 v[192:193], v[192:193], v[50:51]
	;; [unrolled: 1-line block ×4, first 2 shown]
	v_add_f64 v[54:55], v[6:7], -v[10:11]
	v_add_f64 v[29:30], v[29:30], v[50:51]
	v_add_f64 v[50:51], v[4:5], -v[8:9]
	v_add_f64 v[4:5], v[14:15], -v[6:7]
	v_add_f64 v[52:53], v[52:53], v[10:11]
	v_add_f64 v[240:241], v[66:67], v[192:193]
	v_add_f64 v[244:245], v[192:193], -v[66:67]
	v_add_f64 v[250:251], v[44:45], -v[46:47]
	v_add_f64 v[254:255], v[46:47], v[44:45]
	v_add_f64 v[44:45], v[34:35], -v[202:203]
	v_mul_f64 v[66:67], v[2:3], s[16:17]
	v_add_f64 v[242:243], v[194:195], -v[64:65]
	v_add_f64 v[246:247], v[64:65], v[194:195]
	v_add_f64 v[248:249], v[48:49], v[29:30]
	v_add_f64 v[252:253], v[29:30], -v[48:49]
	v_add_f64 v[29:30], v[202:203], -v[200:201]
	;; [unrolled: 1-line block ×4, first 2 shown]
	v_add_f64 v[64:65], v[0:1], v[8:9]
	v_mul_f64 v[82:83], v[4:5], s[16:17]
	v_add_f64 v[34:35], v[200:201], -v[34:35]
	v_add_f64 v[80:81], v[80:81], -v[84:85]
	;; [unrolled: 1-line block ×3, first 2 shown]
	v_mul_f64 v[8:9], v[50:51], s[10:11]
	v_mul_f64 v[0:1], v[44:45], s[2:3]
	v_fma_f64 v[4:5], v[50:51], s[10:11], -v[66:67]
	v_mul_f64 v[2:3], v[48:49], s[2:3]
	v_mul_f64 v[34:35], v[34:35], s[22:23]
	;; [unrolled: 1-line block ×3, first 2 shown]
	v_fma_f64 v[8:9], v[84:85], s[26:27], -v[8:9]
	v_fma_f64 v[0:1], v[29:30], s[14:15], -v[0:1]
	v_fma_f64 v[6:7], v[64:65], s[18:19], v[4:5]
	v_fma_f64 v[4:5], v[54:55], s[10:11], -v[82:83]
	v_fma_f64 v[2:3], v[46:47], s[14:15], -v[2:3]
	;; [unrolled: 1-line block ×3, first 2 shown]
	v_fma_f64 v[34:35], v[44:45], s[2:3], v[34:35]
	v_fma_f64 v[44:45], v[48:49], s[2:3], v[50:51]
	;; [unrolled: 1-line block ×3, first 2 shown]
	v_add_f64 v[48:49], v[88:89], -v[198:199]
	v_add_f64 v[88:89], v[196:197], -v[88:89]
	v_add_f64 v[100:101], v[0:1], v[32:33]
	v_fma_f64 v[4:5], v[52:53], s[18:19], v[4:5]
	v_add_f64 v[102:103], v[2:3], v[86:87]
	v_add_f64 v[12:13], v[12:13], v[32:33]
	v_add_f64 v[32:33], v[34:35], v[32:33]
	v_add_f64 v[34:35], v[44:45], v[86:87]
	v_add_f64 v[44:45], v[206:207], -v[204:205]
	v_add_f64 v[0:1], v[100:101], -v[4:5]
	v_add_f64 v[4:5], v[4:5], v[100:101]
	v_add_f64 v[100:101], v[10:11], -v[14:15]
	v_mul_f64 v[10:11], v[54:55], s[10:11]
	v_fma_f64 v[14:15], v[46:47], s[24:25], -v[50:51]
	v_add_f64 v[50:51], v[94:95], -v[92:93]
	v_add_f64 v[92:93], v[92:93], -v[96:97]
	v_add_f64 v[2:3], v[6:7], v[102:103]
	v_add_f64 v[6:7], v[102:103], -v[6:7]
	v_fma_f64 v[10:11], v[100:101], s[26:27], -v[10:11]
	v_add_f64 v[14:15], v[14:15], v[86:87]
	v_fma_f64 v[86:87], v[90:91], s[12:13], v[212:213]
	v_fma_f64 v[90:91], v[98:99], s[12:13], v[214:215]
	s_delay_alu instid0(VALU_DEP_4) | instskip(NEXT) | instid1(VALU_DEP_4)
	v_fma_f64 v[46:47], v[52:53], s[18:19], v[10:11]
	v_add_f64 v[10:11], v[14:15], -v[29:30]
	v_add_f64 v[14:15], v[29:30], v[14:15]
	v_fma_f64 v[29:30], v[84:85], s[20:21], v[66:67]
	s_delay_alu instid0(VALU_DEP_4) | instskip(SKIP_2) | instid1(VALU_DEP_4)
	v_add_f64 v[8:9], v[46:47], v[12:13]
	v_add_f64 v[12:13], v[12:13], -v[46:47]
	v_fma_f64 v[46:47], v[100:101], s[20:21], v[82:83]
	v_fma_f64 v[29:30], v[64:65], s[18:19], v[29:30]
	s_delay_alu instid0(VALU_DEP_2) | instskip(NEXT) | instid1(VALU_DEP_2)
	v_fma_f64 v[46:47], v[52:53], s[18:19], v[46:47]
	v_add_f64 v[234:235], v[34:35], -v[29:30]
	v_add_f64 v[238:239], v[29:30], v[34:35]
	v_add_f64 v[29:30], v[218:219], -v[226:227]
	v_add_f64 v[34:35], v[216:217], -v[224:225]
	;; [unrolled: 1-line block ×3, first 2 shown]
	v_add_f64 v[232:233], v[46:47], v[32:33]
	v_add_f64 v[236:237], v[32:33], -v[46:47]
	v_add_f64 v[32:33], v[230:231], -v[228:229]
	;; [unrolled: 1-line block ×4, first 2 shown]
	v_add_f64 v[66:67], v[44:45], v[34:35]
	v_add_f64 v[34:35], v[34:35], -v[16:17]
	v_mul_f64 v[82:83], v[52:53], s[2:3]
	ds_store_b128 v28, v[36:39]
	ds_store_b128 v28, v[40:43] offset:896
	ds_store_b128 v28, v[248:251] offset:1920
	;; [unrolled: 1-line block ×13, first 2 shown]
	v_add_f64 v[64:65], v[32:33], -v[29:30]
	v_add_f64 v[54:55], v[32:33], v[29:30]
	v_add_f64 v[29:30], v[29:30], -v[18:19]
	v_mul_f64 v[84:85], v[80:81], s[16:17]
	v_add_f64 v[66:67], v[66:67], v[16:17]
	v_mul_f64 v[80:81], v[48:49], s[2:3]
	v_add_f64 v[16:17], v[16:17], -v[44:45]
	v_mul_f64 v[44:45], v[92:93], s[22:23]
	v_fma_f64 v[82:83], v[50:51], s[14:15], -v[82:83]
	v_mul_f64 v[64:65], v[64:65], s[16:17]
	v_add_f64 v[54:55], v[54:55], v[18:19]
	v_add_f64 v[18:19], v[18:19], -v[32:33]
	v_fma_f64 v[98:99], v[34:35], s[10:11], -v[84:85]
	v_mul_f64 v[32:33], v[34:35], s[10:11]
	v_mul_f64 v[34:35], v[88:89], s[22:23]
	v_fma_f64 v[80:81], v[46:47], s[14:15], -v[80:81]
	v_fma_f64 v[50:51], v[50:51], s[24:25], -v[44:45]
	v_add_f64 v[82:83], v[82:83], v[90:91]
	v_fma_f64 v[94:95], v[29:30], s[10:11], -v[64:65]
	v_mul_f64 v[29:30], v[29:30], s[10:11]
	v_fma_f64 v[98:99], v[66:67], s[18:19], v[98:99]
	v_fma_f64 v[32:33], v[16:17], s[26:27], -v[32:33]
	v_fma_f64 v[46:47], v[46:47], s[24:25], -v[34:35]
	v_fma_f64 v[16:17], v[16:17], s[20:21], v[84:85]
	v_add_f64 v[50:51], v[50:51], v[90:91]
	v_add_f64 v[80:81], v[80:81], v[86:87]
	v_fma_f64 v[94:95], v[54:55], s[18:19], v[94:95]
	v_fma_f64 v[29:30], v[18:19], s[26:27], -v[29:30]
	v_fma_f64 v[18:19], v[18:19], s[20:21], v[64:65]
	v_fma_f64 v[32:33], v[66:67], s[18:19], v[32:33]
	v_add_f64 v[46:47], v[46:47], v[86:87]
	v_fma_f64 v[16:17], v[66:67], s[18:19], v[16:17]
	v_add_f64 v[192:193], v[80:81], -v[98:99]
	v_add_f64 v[80:81], v[98:99], v[80:81]
	v_add_f64 v[194:195], v[94:95], v[82:83]
	v_fma_f64 v[29:30], v[54:55], s[18:19], v[29:30]
	v_fma_f64 v[18:19], v[54:55], s[18:19], v[18:19]
	v_add_f64 v[82:83], v[82:83], -v[94:95]
	v_add_f64 v[200:201], v[32:33], v[46:47]
	v_add_f64 v[204:205], v[46:47], -v[32:33]
	v_fma_f64 v[32:33], v[52:53], s[2:3], v[44:45]
	v_add_f64 v[202:203], v[50:51], -v[29:30]
	v_add_f64 v[206:207], v[29:30], v[50:51]
	v_fma_f64 v[29:30], v[48:49], s[2:3], v[34:35]
	s_delay_alu instid0(VALU_DEP_4) | instskip(NEXT) | instid1(VALU_DEP_2)
	v_add_f64 v[32:33], v[32:33], v[90:91]
	v_add_f64 v[29:30], v[29:30], v[86:87]
	s_delay_alu instid0(VALU_DEP_2) | instskip(SKIP_1) | instid1(VALU_DEP_3)
	v_add_f64 v[218:219], v[32:33], -v[18:19]
	v_add_f64 v[210:211], v[18:19], v[32:33]
	v_add_f64 v[216:217], v[16:17], v[29:30]
	v_add_f64 v[208:209], v[29:30], -v[16:17]
	s_and_saveexec_b32 s1, s0
	s_cbranch_execz .LBB0_19
; %bb.18:
	ds_store_b128 v28, v[212:215] offset:1792
	ds_store_b128 v28, v[216:219] offset:3712
	;; [unrolled: 1-line block ×7, first 2 shown]
.LBB0_19:
	s_or_b32 exec_lo, exec_lo, s1
	scratch_load_b32 v32, off, off offset:4 ; 4-byte Folded Reload
	v_add_co_u32 v196, s1, 0x3000, v31
	s_waitcnt vmcnt(0) lgkmcnt(0)
	s_waitcnt_vscnt null, 0x0
	s_barrier
	buffer_gl0_inv
	ds_load_b128 v[2:5], v28
	ds_load_b128 v[6:9], v28 offset:896
	ds_load_b128 v[14:17], v28 offset:6720
	;; [unrolled: 1-line block ×3, first 2 shown]
	v_add_co_ci_u32_e64 v197, s1, 0, v32, s1
	v_add_co_u32 v0, s1, 0x4000, v31
	s_delay_alu instid0(VALU_DEP_1)
	v_add_co_ci_u32_e64 v1, s1, 0, v32, s1
	global_load_b128 v[220:223], v[196:197], off offset:1152
	v_add_co_u32 v26, s1, 0x6000, v31
	global_load_b128 v[224:227], v[0:1], off offset:3776
	v_add_co_ci_u32_e64 v27, s1, 0, v32, s1
	v_add_co_u32 v29, s1, 0x5000, v31
	s_delay_alu instid0(VALU_DEP_1)
	v_add_co_ci_u32_e64 v30, s1, 0, v32, s1
	s_clause 0x1
	global_load_b128 v[10:13], v[26:27], off offset:960
	global_load_b128 v[36:39], v[29:30], off offset:576
	s_waitcnt vmcnt(3) lgkmcnt(3)
	v_mul_f64 v[18:19], v[4:5], v[222:223]
	v_mul_f64 v[20:21], v[2:3], v[222:223]
	s_delay_alu instid0(VALU_DEP_2) | instskip(SKIP_2) | instid1(VALU_DEP_3)
	v_fma_f64 v[18:19], v[2:3], v[220:221], -v[18:19]
	s_waitcnt vmcnt(2) lgkmcnt(1)
	v_mul_f64 v[2:3], v[16:17], v[226:227]
	v_fma_f64 v[20:21], v[4:5], v[220:221], v[20:21]
	v_mul_f64 v[4:5], v[14:15], v[226:227]
	s_delay_alu instid0(VALU_DEP_3) | instskip(SKIP_1) | instid1(VALU_DEP_1)
	v_fma_f64 v[14:15], v[14:15], v[224:225], -v[2:3]
	v_add_co_u32 v2, s1, 0x3480, v31
	v_add_co_ci_u32_e64 v3, s1, 0, v32, s1
	s_clause 0x1
	global_load_b128 v[40:43], v[2:3], off offset:896
	global_load_b128 v[220:223], v[2:3], off offset:1792
	v_fma_f64 v[16:17], v[16:17], v[224:225], v[4:5]
	s_waitcnt vmcnt(1)
	v_mul_f64 v[4:5], v[8:9], v[42:43]
	v_mul_f64 v[31:32], v[6:7], v[42:43]
	s_delay_alu instid0(VALU_DEP_2) | instskip(NEXT) | instid1(VALU_DEP_2)
	v_fma_f64 v[4:5], v[6:7], v[40:41], -v[4:5]
	v_fma_f64 v[6:7], v[8:9], v[40:41], v[31:32]
	ds_load_b128 v[40:43], v28 offset:7616
	ds_load_b128 v[224:227], v28 offset:8512
	;; [unrolled: 1-line block ×4, first 2 shown]
	s_waitcnt lgkmcnt(3)
	v_mul_f64 v[8:9], v[42:43], v[38:39]
	v_mul_f64 v[31:32], v[40:41], v[38:39]
	s_delay_alu instid0(VALU_DEP_2) | instskip(NEXT) | instid1(VALU_DEP_2)
	v_fma_f64 v[38:39], v[40:41], v[36:37], -v[8:9]
	v_fma_f64 v[40:41], v[42:43], v[36:37], v[31:32]
	s_waitcnt vmcnt(0) lgkmcnt(1)
	v_mul_f64 v[8:9], v[230:231], v[222:223]
	v_mul_f64 v[31:32], v[228:229], v[222:223]
	s_delay_alu instid0(VALU_DEP_2) | instskip(NEXT) | instid1(VALU_DEP_2)
	v_fma_f64 v[228:229], v[228:229], v[220:221], -v[8:9]
	v_fma_f64 v[230:231], v[230:231], v[220:221], v[31:32]
	s_clause 0x3
	global_load_b128 v[220:223], v[29:30], off offset:1472
	global_load_b128 v[236:239], v[29:30], off offset:2368
	;; [unrolled: 1-line block ×4, first 2 shown]
	s_waitcnt vmcnt(3)
	v_mul_f64 v[8:9], v[226:227], v[222:223]
	v_mul_f64 v[31:32], v[224:225], v[222:223]
	s_delay_alu instid0(VALU_DEP_2) | instskip(NEXT) | instid1(VALU_DEP_2)
	v_fma_f64 v[222:223], v[224:225], v[220:221], -v[8:9]
	v_fma_f64 v[224:225], v[226:227], v[220:221], v[31:32]
	s_waitcnt vmcnt(1) lgkmcnt(0)
	v_mul_f64 v[8:9], v[234:235], v[242:243]
	v_mul_f64 v[31:32], v[232:233], v[242:243]
	s_delay_alu instid0(VALU_DEP_2) | instskip(NEXT) | instid1(VALU_DEP_2)
	v_fma_f64 v[232:233], v[232:233], v[240:241], -v[8:9]
	v_fma_f64 v[234:235], v[234:235], v[240:241], v[31:32]
	ds_load_b128 v[240:243], v28 offset:9408
	ds_load_b128 v[248:251], v28 offset:10304
	ds_load_b128 v[252:255], v28 offset:3584
	ds_load_b128 v[42:45], v28 offset:4480
	s_waitcnt lgkmcnt(3)
	v_mul_f64 v[8:9], v[242:243], v[238:239]
	v_mul_f64 v[31:32], v[240:241], v[238:239]
	s_delay_alu instid0(VALU_DEP_2) | instskip(NEXT) | instid1(VALU_DEP_2)
	v_fma_f64 v[238:239], v[240:241], v[236:237], -v[8:9]
	v_fma_f64 v[240:241], v[242:243], v[236:237], v[31:32]
	s_waitcnt vmcnt(0) lgkmcnt(1)
	v_mul_f64 v[8:9], v[254:255], v[246:247]
	v_mul_f64 v[31:32], v[252:253], v[246:247]
	s_delay_alu instid0(VALU_DEP_2) | instskip(NEXT) | instid1(VALU_DEP_2)
	v_fma_f64 v[242:243], v[252:253], v[244:245], -v[8:9]
	v_fma_f64 v[244:245], v[254:255], v[244:245], v[31:32]
	s_clause 0x1
	global_load_b128 v[252:255], v[29:30], off offset:3264
	global_load_b128 v[46:49], v[26:27], off offset:64
	s_waitcnt vmcnt(1)
	v_mul_f64 v[8:9], v[250:251], v[254:255]
	v_mul_f64 v[26:27], v[248:249], v[254:255]
	s_delay_alu instid0(VALU_DEP_2) | instskip(NEXT) | instid1(VALU_DEP_2)
	v_fma_f64 v[246:247], v[248:249], v[252:253], -v[8:9]
	v_fma_f64 v[248:249], v[250:251], v[252:253], v[26:27]
	s_clause 0x1
	global_load_b128 v[250:253], v[0:1], off offset:1536
	global_load_b128 v[50:53], v[0:1], off offset:2432
	s_waitcnt vmcnt(1) lgkmcnt(0)
	v_mul_f64 v[0:1], v[44:45], v[252:253]
	v_mul_f64 v[8:9], v[42:43], v[252:253]
	s_delay_alu instid0(VALU_DEP_2) | instskip(NEXT) | instid1(VALU_DEP_2)
	v_fma_f64 v[42:43], v[42:43], v[250:251], -v[0:1]
	v_fma_f64 v[44:45], v[44:45], v[250:251], v[8:9]
	ds_load_b128 v[250:253], v28 offset:11200
	ds_load_b128 v[29:32], v28 offset:12096
	s_waitcnt lgkmcnt(1)
	v_mul_f64 v[0:1], v[252:253], v[48:49]
	v_mul_f64 v[8:9], v[250:251], v[48:49]
	s_delay_alu instid0(VALU_DEP_2) | instskip(SKIP_2) | instid1(VALU_DEP_3)
	v_fma_f64 v[250:251], v[250:251], v[46:47], -v[0:1]
	s_waitcnt vmcnt(0)
	v_mul_f64 v[0:1], v[24:25], v[52:53]
	v_fma_f64 v[252:253], v[252:253], v[46:47], v[8:9]
	v_mul_f64 v[8:9], v[22:23], v[52:53]
	s_delay_alu instid0(VALU_DEP_3) | instskip(SKIP_3) | instid1(VALU_DEP_4)
	v_fma_f64 v[22:23], v[22:23], v[50:51], -v[0:1]
	s_waitcnt lgkmcnt(0)
	v_mul_f64 v[0:1], v[31:32], v[12:13]
	v_mul_f64 v[12:13], v[29:30], v[12:13]
	v_fma_f64 v[24:25], v[24:25], v[50:51], v[8:9]
	s_delay_alu instid0(VALU_DEP_3) | instskip(NEXT) | instid1(VALU_DEP_3)
	v_fma_f64 v[8:9], v[29:30], v[10:11], -v[0:1]
	v_fma_f64 v[10:11], v[31:32], v[10:11], v[12:13]
	ds_store_b128 v28, v[18:21]
	ds_store_b128 v28, v[4:7] offset:896
	ds_store_b128 v28, v[38:41] offset:7616
	;; [unrolled: 1-line block ×13, first 2 shown]
	s_and_saveexec_b32 s2, vcc_lo
	s_cbranch_execz .LBB0_21
; %bb.20:
	v_add_co_u32 v0, s1, 0x1000, v2
	s_delay_alu instid0(VALU_DEP_1) | instskip(SKIP_1) | instid1(VALU_DEP_1)
	v_add_co_ci_u32_e64 v1, s1, 0, v3, s1
	v_add_co_u32 v4, s1, 0x3000, v2
	v_add_co_ci_u32_e64 v5, s1, 0, v3, s1
	s_clause 0x1
	global_load_b128 v[0:3], v[0:1], off offset:2176
	global_load_b128 v[4:7], v[4:5], off offset:704
	ds_load_b128 v[8:11], v28 offset:6272
	ds_load_b128 v[12:15], v28 offset:12992
	s_waitcnt vmcnt(1) lgkmcnt(1)
	v_mul_f64 v[16:17], v[10:11], v[2:3]
	v_mul_f64 v[2:3], v[8:9], v[2:3]
	s_waitcnt vmcnt(0) lgkmcnt(0)
	v_mul_f64 v[18:19], v[14:15], v[6:7]
	v_mul_f64 v[20:21], v[12:13], v[6:7]
	s_delay_alu instid0(VALU_DEP_4) | instskip(NEXT) | instid1(VALU_DEP_4)
	v_fma_f64 v[6:7], v[8:9], v[0:1], -v[16:17]
	v_fma_f64 v[8:9], v[10:11], v[0:1], v[2:3]
	s_delay_alu instid0(VALU_DEP_4) | instskip(NEXT) | instid1(VALU_DEP_4)
	v_fma_f64 v[0:1], v[12:13], v[4:5], -v[18:19]
	v_fma_f64 v[2:3], v[14:15], v[4:5], v[20:21]
	ds_store_b128 v28, v[6:9] offset:6272
	ds_store_b128 v28, v[0:3] offset:12992
.LBB0_21:
	s_or_b32 exec_lo, exec_lo, s2
	s_waitcnt lgkmcnt(0)
	s_barrier
	buffer_gl0_inv
	ds_load_b128 v[12:15], v28
	ds_load_b128 v[4:7], v28 offset:896
	ds_load_b128 v[8:11], v28 offset:7616
	;; [unrolled: 1-line block ×13, first 2 shown]
	s_and_saveexec_b32 s1, vcc_lo
	s_cbranch_execz .LBB0_23
; %bb.22:
	ds_load_b128 v[212:215], v28 offset:6272
	ds_load_b128 v[216:219], v28 offset:12992
.LBB0_23:
	s_or_b32 exec_lo, exec_lo, s1
	s_waitcnt lgkmcnt(0)
	s_barrier
	buffer_gl0_inv
	scratch_load_b32 v20, off, off offset:284 ; 4-byte Folded Reload
	v_add_f64 v[16:17], v[12:13], -v[16:17]
	v_add_f64 v[18:19], v[14:15], -v[18:19]
	;; [unrolled: 1-line block ×6, first 2 shown]
	v_fma_f64 v[12:13], v[12:13], 2.0, -v[16:17]
	v_fma_f64 v[14:15], v[14:15], 2.0, -v[18:19]
	;; [unrolled: 1-line block ×4, first 2 shown]
	s_waitcnt vmcnt(0)
	ds_store_b128 v20, v[16:19] offset:16
	ds_store_b128 v20, v[12:15]
	scratch_load_b32 v12, off, off offset:280 ; 4-byte Folded Reload
	v_add_f64 v[14:15], v[226:227], -v[246:247]
	v_add_f64 v[16:17], v[232:233], -v[240:241]
	;; [unrolled: 1-line block ×3, first 2 shown]
	s_waitcnt vmcnt(0)
	ds_store_b128 v12, v[4:7]
	ds_store_b128 v12, v[8:11] offset:16
	scratch_load_b32 v8, off, off offset:272 ; 4-byte Folded Reload
	v_fma_f64 v[4:5], v[252:253], 2.0, -v[0:1]
	v_fma_f64 v[6:7], v[254:255], 2.0, -v[2:3]
	v_add_f64 v[10:11], v[230:231], -v[238:239]
	v_add_f64 v[12:13], v[224:225], -v[244:245]
	v_fma_f64 v[31:32], v[226:227], 2.0, -v[14:15]
	v_fma_f64 v[36:37], v[232:233], 2.0, -v[16:17]
	;; [unrolled: 1-line block ×3, first 2 shown]
	s_waitcnt vmcnt(0)
	ds_store_b128 v8, v[4:7]
	ds_store_b128 v8, v[0:3] offset:16
	scratch_load_b32 v33, off, off offset:268 ; 4-byte Folded Reload
	v_add_f64 v[4:5], v[220:221], -v[248:249]
	v_add_f64 v[6:7], v[222:223], -v[250:251]
	;; [unrolled: 1-line block ×3, first 2 shown]
	v_fma_f64 v[26:27], v[230:231], 2.0, -v[10:11]
	v_fma_f64 v[29:30], v[224:225], 2.0, -v[12:13]
	v_add_f64 v[0:1], v[212:213], -v[216:217]
	v_add_f64 v[2:3], v[214:215], -v[218:219]
	v_fma_f64 v[20:21], v[220:221], 2.0, -v[4:5]
	v_fma_f64 v[22:23], v[222:223], 2.0, -v[6:7]
	;; [unrolled: 1-line block ×3, first 2 shown]
	s_waitcnt vmcnt(0)
	ds_store_b128 v33, v[20:23]
	ds_store_b128 v33, v[4:7] offset:16
	scratch_load_b32 v4, off, off offset:292 ; 4-byte Folded Reload
	v_fma_f64 v[212:213], v[212:213], 2.0, -v[0:1]
	v_fma_f64 v[214:215], v[214:215], 2.0, -v[2:3]
	s_waitcnt vmcnt(0)
	ds_store_b128 v4, v[24:27]
	ds_store_b128 v4, v[8:11] offset:16
	scratch_load_b32 v4, off, off offset:296 ; 4-byte Folded Reload
	s_waitcnt vmcnt(0)
	ds_store_b128 v4, v[29:32]
	ds_store_b128 v4, v[12:15] offset:16
	scratch_load_b32 v4, off, off offset:276 ; 4-byte Folded Reload
	s_waitcnt vmcnt(0)
	ds_store_b128 v4, v[36:39]
	ds_store_b128 v4, v[16:19] offset:16
	s_and_saveexec_b32 s1, vcc_lo
	s_cbranch_execz .LBB0_25
; %bb.24:
	scratch_load_b32 v4, off, off offset:392 ; 4-byte Folded Reload
	s_waitcnt vmcnt(0)
	ds_store_b128 v4, v[212:215]
	ds_store_b128 v4, v[0:3] offset:16
.LBB0_25:
	s_or_b32 exec_lo, exec_lo, s1
	s_waitcnt lgkmcnt(0)
	s_barrier
	buffer_gl0_inv
	ds_load_b128 v[240:243], v28
	ds_load_b128 v[236:239], v28 offset:896
	ds_load_b128 v[252:255], v28 offset:7616
	;; [unrolled: 1-line block ×13, first 2 shown]
	s_and_saveexec_b32 s1, vcc_lo
	s_cbranch_execz .LBB0_27
; %bb.26:
	ds_load_b128 v[212:215], v28 offset:6272
	ds_load_b128 v[0:3], v28 offset:12992
.LBB0_27:
	s_or_b32 exec_lo, exec_lo, s1
	s_waitcnt lgkmcnt(7)
	v_mul_f64 v[29:30], v[78:79], v[14:15]
	s_waitcnt lgkmcnt(0)
	s_barrier
	buffer_gl0_inv
	v_mul_f64 v[20:21], v[78:79], v[18:19]
	v_mul_f64 v[22:23], v[78:79], v[252:253]
	;; [unrolled: 1-line block ×4, first 2 shown]
	v_fma_f64 v[29:30], v[76:77], v[12:13], v[29:30]
	v_mul_f64 v[12:13], v[78:79], v[12:13]
	v_fma_f64 v[20:21], v[76:77], v[16:17], v[20:21]
	v_mul_f64 v[16:17], v[78:79], v[16:17]
	v_fma_f64 v[22:23], v[76:77], v[254:255], -v[22:23]
	v_fma_f64 v[24:25], v[76:77], v[248:249], v[24:25]
	v_fma_f64 v[26:27], v[76:77], v[250:251], -v[26:27]
	v_fma_f64 v[12:13], v[76:77], v[14:15], -v[12:13]
	v_mul_f64 v[14:15], v[78:79], v[10:11]
	v_fma_f64 v[16:17], v[76:77], v[18:19], -v[16:17]
	v_mul_f64 v[18:19], v[78:79], v[254:255]
	s_delay_alu instid0(VALU_DEP_3) | instskip(SKIP_1) | instid1(VALU_DEP_3)
	v_fma_f64 v[14:15], v[76:77], v[8:9], v[14:15]
	v_mul_f64 v[8:9], v[78:79], v[8:9]
	v_fma_f64 v[18:19], v[76:77], v[252:253], v[18:19]
	s_delay_alu instid0(VALU_DEP_2) | instskip(SKIP_1) | instid1(VALU_DEP_2)
	v_fma_f64 v[10:11], v[76:77], v[10:11], -v[8:9]
	v_mul_f64 v[8:9], v[78:79], v[246:247]
	v_add_f64 v[10:11], v[226:227], -v[10:11]
	s_delay_alu instid0(VALU_DEP_2) | instskip(SKIP_1) | instid1(VALU_DEP_1)
	v_fma_f64 v[31:32], v[76:77], v[244:245], v[8:9]
	v_mul_f64 v[8:9], v[78:79], v[244:245]
	v_fma_f64 v[33:34], v[76:77], v[246:247], -v[8:9]
	v_mul_f64 v[8:9], v[78:79], v[6:7]
	s_delay_alu instid0(VALU_DEP_1) | instskip(SKIP_2) | instid1(VALU_DEP_1)
	v_fma_f64 v[35:36], v[76:77], v[4:5], v[8:9]
	scratch_load_b32 v8, off, off offset:348 ; 4-byte Folded Reload
	v_mul_f64 v[4:5], v[78:79], v[4:5]
	v_fma_f64 v[37:38], v[76:77], v[6:7], -v[4:5]
	v_mul_f64 v[4:5], v[78:79], v[2:3]
	s_delay_alu instid0(VALU_DEP_1) | instskip(SKIP_1) | instid1(VALU_DEP_1)
	v_fma_f64 v[39:40], v[76:77], v[0:1], v[4:5]
	v_mul_f64 v[0:1], v[78:79], v[0:1]
	v_fma_f64 v[41:42], v[76:77], v[2:3], -v[0:1]
	v_add_f64 v[0:1], v[240:241], -v[20:21]
	v_add_f64 v[2:3], v[242:243], -v[16:17]
	;; [unrolled: 1-line block ×3, first 2 shown]
	s_delay_alu instid0(VALU_DEP_3) | instskip(NEXT) | instid1(VALU_DEP_3)
	v_fma_f64 v[4:5], v[240:241], 2.0, -v[0:1]
	v_fma_f64 v[6:7], v[242:243], 2.0, -v[2:3]
	s_delay_alu instid0(VALU_DEP_3)
	v_fma_f64 v[20:21], v[220:221], 2.0, -v[16:17]
	s_waitcnt vmcnt(0)
	ds_store_b128 v8, v[0:3] offset:32
	ds_store_b128 v8, v[4:7]
	scratch_load_b32 v8, off, off offset:340 ; 4-byte Folded Reload
	v_add_f64 v[0:1], v[236:237], -v[18:19]
	v_add_f64 v[2:3], v[238:239], -v[22:23]
	;; [unrolled: 1-line block ×3, first 2 shown]
	s_delay_alu instid0(VALU_DEP_3) | instskip(NEXT) | instid1(VALU_DEP_3)
	v_fma_f64 v[4:5], v[236:237], 2.0, -v[0:1]
	v_fma_f64 v[6:7], v[238:239], 2.0, -v[2:3]
	s_delay_alu instid0(VALU_DEP_3)
	v_fma_f64 v[22:23], v[222:223], 2.0, -v[18:19]
	s_waitcnt vmcnt(0)
	ds_store_b128 v8, v[4:7]
	ds_store_b128 v8, v[0:3] offset:32
	scratch_load_b32 v8, off, off offset:332 ; 4-byte Folded Reload
	v_add_f64 v[0:1], v[232:233], -v[24:25]
	v_add_f64 v[2:3], v[234:235], -v[26:27]
	;; [unrolled: 1-line block ×4, first 2 shown]
	s_delay_alu instid0(VALU_DEP_4) | instskip(NEXT) | instid1(VALU_DEP_4)
	v_fma_f64 v[4:5], v[232:233], 2.0, -v[0:1]
	v_fma_f64 v[6:7], v[234:235], 2.0, -v[2:3]
	s_waitcnt vmcnt(0)
	ds_store_b128 v8, v[4:7]
	ds_store_b128 v8, v[0:3] offset:32
	scratch_load_b32 v33, off, off offset:324 ; 4-byte Folded Reload
	v_add_f64 v[0:1], v[228:229], -v[29:30]
	v_add_f64 v[2:3], v[230:231], -v[12:13]
	;; [unrolled: 1-line block ×3, first 2 shown]
	v_fma_f64 v[14:15], v[226:227], 2.0, -v[10:11]
	v_fma_f64 v[29:30], v[216:217], 2.0, -v[24:25]
	;; [unrolled: 1-line block ×6, first 2 shown]
	v_add_f64 v[228:229], v[212:213], -v[39:40]
	v_add_f64 v[230:231], v[214:215], -v[41:42]
	s_waitcnt vmcnt(0)
	ds_store_b128 v33, v[4:7]
	ds_store_b128 v33, v[0:3] offset:32
	scratch_load_b32 v0, off, off offset:316 ; 4-byte Folded Reload
	v_fma_f64 v[76:77], v[212:213], 2.0, -v[228:229]
	v_fma_f64 v[78:79], v[214:215], 2.0, -v[230:231]
	s_waitcnt vmcnt(0)
	ds_store_b128 v0, v[12:15]
	ds_store_b128 v0, v[8:11] offset:32
	scratch_load_b32 v0, off, off offset:308 ; 4-byte Folded Reload
	s_waitcnt vmcnt(0)
	ds_store_b128 v0, v[20:23]
	ds_store_b128 v0, v[16:19] offset:32
	scratch_load_b32 v0, off, off offset:300 ; 4-byte Folded Reload
	s_waitcnt vmcnt(0)
	ds_store_b128 v0, v[29:32]
	ds_store_b128 v0, v[24:27] offset:32
	s_and_saveexec_b32 s1, vcc_lo
	s_cbranch_execz .LBB0_29
; %bb.28:
	s_clause 0x1
	scratch_load_b32 v0, off, off
	scratch_load_b32 v1, off, off offset:384
	s_waitcnt vmcnt(0)
	v_and_or_b32 v0, 0x37c, v0, v1
	s_delay_alu instid0(VALU_DEP_1)
	v_lshlrev_b32_e32 v0, 4, v0
	ds_store_b128 v0, v[76:79]
	ds_store_b128 v0, v[228:231] offset:32
.LBB0_29:
	s_or_b32 exec_lo, exec_lo, s1
	s_waitcnt lgkmcnt(0)
	s_barrier
	buffer_gl0_inv
	ds_load_b128 v[240:243], v28
	ds_load_b128 v[236:239], v28 offset:896
	ds_load_b128 v[248:251], v28 offset:7616
	;; [unrolled: 1-line block ×13, first 2 shown]
	s_and_saveexec_b32 s1, vcc_lo
	s_cbranch_execz .LBB0_31
; %bb.30:
	ds_load_b128 v[76:79], v28 offset:6272
	ds_load_b128 v[228:231], v28 offset:12992
.LBB0_31:
	s_or_b32 exec_lo, exec_lo, s1
	s_waitcnt lgkmcnt(7)
	v_mul_f64 v[29:30], v[74:75], v[10:11]
	s_waitcnt lgkmcnt(0)
	s_barrier
	buffer_gl0_inv
	v_mul_f64 v[20:21], v[74:75], v[18:19]
	v_mul_f64 v[22:23], v[74:75], v[248:249]
	v_mul_f64 v[24:25], v[74:75], v[246:247]
	v_mul_f64 v[26:27], v[74:75], v[244:245]
	v_fma_f64 v[29:30], v[72:73], v[8:9], v[29:30]
	v_mul_f64 v[8:9], v[74:75], v[8:9]
	v_fma_f64 v[20:21], v[72:73], v[16:17], v[20:21]
	v_mul_f64 v[16:17], v[74:75], v[16:17]
	v_fma_f64 v[22:23], v[72:73], v[250:251], -v[22:23]
	v_fma_f64 v[24:25], v[72:73], v[244:245], v[24:25]
	v_fma_f64 v[26:27], v[72:73], v[246:247], -v[26:27]
	v_fma_f64 v[8:9], v[72:73], v[10:11], -v[8:9]
	v_mul_f64 v[10:11], v[74:75], v[6:7]
	v_fma_f64 v[16:17], v[72:73], v[18:19], -v[16:17]
	v_mul_f64 v[18:19], v[74:75], v[250:251]
	s_delay_alu instid0(VALU_DEP_3) | instskip(SKIP_1) | instid1(VALU_DEP_3)
	v_fma_f64 v[10:11], v[72:73], v[4:5], v[10:11]
	v_mul_f64 v[4:5], v[74:75], v[4:5]
	v_fma_f64 v[18:19], v[72:73], v[248:249], v[18:19]
	s_delay_alu instid0(VALU_DEP_2) | instskip(SKIP_1) | instid1(VALU_DEP_1)
	v_fma_f64 v[31:32], v[72:73], v[6:7], -v[4:5]
	v_mul_f64 v[4:5], v[74:75], v[14:15]
	v_fma_f64 v[33:34], v[72:73], v[12:13], v[4:5]
	v_mul_f64 v[4:5], v[74:75], v[12:13]
	scratch_load_b32 v12, off, off offset:344 ; 4-byte Folded Reload
	v_fma_f64 v[35:36], v[72:73], v[14:15], -v[4:5]
	v_mul_f64 v[4:5], v[74:75], v[2:3]
	s_delay_alu instid0(VALU_DEP_1) | instskip(SKIP_1) | instid1(VALU_DEP_1)
	v_fma_f64 v[37:38], v[72:73], v[0:1], v[4:5]
	v_mul_f64 v[0:1], v[74:75], v[0:1]
	v_fma_f64 v[39:40], v[72:73], v[2:3], -v[0:1]
	v_mul_f64 v[0:1], v[74:75], v[230:231]
	v_add_f64 v[2:3], v[242:243], -v[16:17]
	v_add_f64 v[16:17], v[216:217], -v[33:34]
	s_delay_alu instid0(VALU_DEP_3) | instskip(SKIP_1) | instid1(VALU_DEP_4)
	v_fma_f64 v[41:42], v[72:73], v[228:229], v[0:1]
	v_mul_f64 v[0:1], v[74:75], v[228:229]
	v_fma_f64 v[6:7], v[242:243], 2.0, -v[2:3]
	s_delay_alu instid0(VALU_DEP_2) | instskip(SKIP_3) | instid1(VALU_DEP_4)
	v_fma_f64 v[43:44], v[72:73], v[230:231], -v[0:1]
	v_add_f64 v[0:1], v[240:241], -v[20:21]
	v_fma_f64 v[20:21], v[216:217], 2.0, -v[16:17]
	v_add_f64 v[72:73], v[76:77], -v[41:42]
	v_add_f64 v[74:75], v[78:79], -v[43:44]
	s_delay_alu instid0(VALU_DEP_4)
	v_fma_f64 v[4:5], v[240:241], 2.0, -v[0:1]
	s_waitcnt vmcnt(0)
	ds_store_b128 v12, v[0:3] offset:64
	ds_store_b128 v12, v[4:7]
	scratch_load_b32 v12, off, off offset:336 ; 4-byte Folded Reload
	v_add_f64 v[0:1], v[236:237], -v[18:19]
	v_add_f64 v[2:3], v[238:239], -v[22:23]
	;; [unrolled: 1-line block ×3, first 2 shown]
	s_delay_alu instid0(VALU_DEP_3) | instskip(NEXT) | instid1(VALU_DEP_3)
	v_fma_f64 v[4:5], v[236:237], 2.0, -v[0:1]
	v_fma_f64 v[6:7], v[238:239], 2.0, -v[2:3]
	s_delay_alu instid0(VALU_DEP_3)
	v_fma_f64 v[22:23], v[218:219], 2.0, -v[18:19]
	s_waitcnt vmcnt(0)
	ds_store_b128 v12, v[4:7]
	ds_store_b128 v12, v[0:3] offset:64
	scratch_load_b32 v12, off, off offset:328 ; 4-byte Folded Reload
	v_add_f64 v[0:1], v[232:233], -v[24:25]
	v_add_f64 v[2:3], v[234:235], -v[26:27]
	;; [unrolled: 1-line block ×4, first 2 shown]
	s_delay_alu instid0(VALU_DEP_4) | instskip(NEXT) | instid1(VALU_DEP_4)
	v_fma_f64 v[4:5], v[232:233], 2.0, -v[0:1]
	v_fma_f64 v[6:7], v[234:235], 2.0, -v[2:3]
	s_waitcnt vmcnt(0)
	ds_store_b128 v12, v[4:7]
	ds_store_b128 v12, v[0:3] offset:64
	scratch_load_b32 v33, off, off offset:320 ; 4-byte Folded Reload
	v_add_f64 v[0:1], v[224:225], -v[29:30]
	v_add_f64 v[2:3], v[226:227], -v[8:9]
	;; [unrolled: 1-line block ×4, first 2 shown]
	v_fma_f64 v[29:30], v[212:213], 2.0, -v[24:25]
	v_fma_f64 v[31:32], v[214:215], 2.0, -v[26:27]
	;; [unrolled: 1-line block ×6, first 2 shown]
	s_waitcnt vmcnt(0)
	ds_store_b128 v33, v[4:7]
	ds_store_b128 v33, v[0:3] offset:64
	scratch_load_b32 v0, off, off offset:312 ; 4-byte Folded Reload
	s_waitcnt vmcnt(0)
	ds_store_b128 v0, v[12:15]
	ds_store_b128 v0, v[8:11] offset:64
	scratch_load_b32 v0, off, off offset:304 ; 4-byte Folded Reload
	;; [unrolled: 4-line block ×3, first 2 shown]
	s_waitcnt vmcnt(0)
	ds_store_b128 v0, v[29:32]
	ds_store_b128 v0, v[24:27] offset:64
	s_and_saveexec_b32 s1, vcc_lo
	s_cbranch_execz .LBB0_33
; %bb.32:
	s_clause 0x1
	scratch_load_b32 v4, off, off
	scratch_load_b32 v5, off, off offset:388
	v_fma_f64 v[2:3], v[78:79], 2.0, -v[74:75]
	v_fma_f64 v[0:1], v[76:77], 2.0, -v[72:73]
	s_waitcnt vmcnt(0)
	v_and_or_b32 v4, 0x378, v4, v5
	s_delay_alu instid0(VALU_DEP_1)
	v_lshlrev_b32_e32 v4, 4, v4
	ds_store_b128 v4, v[0:3]
	ds_store_b128 v4, v[72:75] offset:64
.LBB0_33:
	s_or_b32 exec_lo, exec_lo, s1
	s_waitcnt lgkmcnt(0)
	s_barrier
	buffer_gl0_inv
	ds_load_b128 v[0:3], v28 offset:4480
	ds_load_b128 v[4:7], v28 offset:3584
	s_mov_b32 s2, 0xe8584caa
	s_mov_b32 s3, 0xbfebb67a
	;; [unrolled: 1-line block ×10, first 2 shown]
	s_waitcnt lgkmcnt(1)
	v_mul_f64 v[8:9], v[62:63], v[2:3]
	s_delay_alu instid0(VALU_DEP_1) | instskip(SKIP_1) | instid1(VALU_DEP_1)
	v_fma_f64 v[12:13], v[60:61], v[0:1], v[8:9]
	v_mul_f64 v[0:1], v[62:63], v[0:1]
	v_fma_f64 v[14:15], v[60:61], v[2:3], -v[0:1]
	ds_load_b128 v[0:3], v28 offset:5376
	ds_load_b128 v[8:11], v28 offset:6272
	s_waitcnt lgkmcnt(1)
	v_mul_f64 v[16:17], v[62:63], v[2:3]
	s_delay_alu instid0(VALU_DEP_1) | instskip(SKIP_1) | instid1(VALU_DEP_1)
	v_fma_f64 v[29:30], v[60:61], v[0:1], v[16:17]
	v_mul_f64 v[0:1], v[62:63], v[0:1]
	v_fma_f64 v[31:32], v[60:61], v[2:3], -v[0:1]
	s_waitcnt lgkmcnt(0)
	v_mul_f64 v[0:1], v[62:63], v[10:11]
	s_delay_alu instid0(VALU_DEP_1) | instskip(SKIP_1) | instid1(VALU_DEP_1)
	v_fma_f64 v[33:34], v[60:61], v[8:9], v[0:1]
	v_mul_f64 v[0:1], v[62:63], v[8:9]
	v_fma_f64 v[35:36], v[60:61], v[10:11], -v[0:1]
	ds_load_b128 v[0:3], v28 offset:7168
	ds_load_b128 v[8:11], v28 offset:8064
	s_waitcnt lgkmcnt(1)
	v_mul_f64 v[16:17], v[62:63], v[2:3]
	s_delay_alu instid0(VALU_DEP_1) | instskip(SKIP_1) | instid1(VALU_DEP_1)
	v_fma_f64 v[37:38], v[60:61], v[0:1], v[16:17]
	v_mul_f64 v[0:1], v[62:63], v[0:1]
	v_fma_f64 v[39:40], v[60:61], v[2:3], -v[0:1]
	;; [unrolled: 14-line block ×3, first 2 shown]
	s_waitcnt lgkmcnt(0)
	v_mul_f64 v[0:1], v[58:59], v[10:11]
	s_delay_alu instid0(VALU_DEP_2) | instskip(NEXT) | instid1(VALU_DEP_2)
	v_add_f64 v[22:23], v[14:15], v[18:19]
	v_fma_f64 v[45:46], v[56:57], v[8:9], v[0:1]
	v_mul_f64 v[0:1], v[58:59], v[8:9]
	s_delay_alu instid0(VALU_DEP_1) | instskip(SKIP_4) | instid1(VALU_DEP_1)
	v_fma_f64 v[47:48], v[56:57], v[10:11], -v[0:1]
	ds_load_b128 v[0:3], v28 offset:10752
	ds_load_b128 v[8:11], v28 offset:11648
	s_waitcnt lgkmcnt(1)
	v_mul_f64 v[20:21], v[58:59], v[2:3]
	v_fma_f64 v[49:50], v[56:57], v[0:1], v[20:21]
	v_mul_f64 v[0:1], v[58:59], v[0:1]
	v_add_f64 v[20:21], v[12:13], v[16:17]
	s_delay_alu instid0(VALU_DEP_2) | instskip(SKIP_2) | instid1(VALU_DEP_1)
	v_fma_f64 v[51:52], v[56:57], v[2:3], -v[0:1]
	s_waitcnt lgkmcnt(0)
	v_mul_f64 v[0:1], v[58:59], v[10:11]
	v_fma_f64 v[53:54], v[56:57], v[8:9], v[0:1]
	v_mul_f64 v[0:1], v[58:59], v[8:9]
	s_delay_alu instid0(VALU_DEP_1) | instskip(SKIP_3) | instid1(VALU_DEP_1)
	v_fma_f64 v[60:61], v[56:57], v[10:11], -v[0:1]
	ds_load_b128 v[0:3], v28 offset:12544
	s_waitcnt lgkmcnt(0)
	v_mul_f64 v[8:9], v[58:59], v[2:3]
	v_fma_f64 v[62:63], v[56:57], v[0:1], v[8:9]
	v_mul_f64 v[0:1], v[58:59], v[0:1]
	s_delay_alu instid0(VALU_DEP_1)
	v_fma_f64 v[55:56], v[56:57], v[2:3], -v[0:1]
	ds_load_b128 v[0:3], v28
	ds_load_b128 v[8:11], v28 offset:896
	s_waitcnt lgkmcnt(1)
	v_fma_f64 v[22:23], v[22:23], -0.5, v[2:3]
	v_add_f64 v[2:3], v[2:3], v[14:15]
	v_fma_f64 v[20:21], v[20:21], -0.5, v[0:1]
	v_add_f64 v[0:1], v[0:1], v[12:13]
	v_add_f64 v[14:15], v[14:15], -v[18:19]
	s_delay_alu instid0(VALU_DEP_4) | instskip(SKIP_1) | instid1(VALU_DEP_4)
	v_add_f64 v[2:3], v[2:3], v[18:19]
	v_add_f64 v[18:19], v[12:13], -v[16:17]
	v_add_f64 v[0:1], v[0:1], v[16:17]
	s_delay_alu instid0(VALU_DEP_4) | instskip(SKIP_1) | instid1(VALU_DEP_4)
	v_fma_f64 v[12:13], v[14:15], s[2:3], v[20:21]
	v_fma_f64 v[16:17], v[14:15], s[10:11], v[20:21]
	;; [unrolled: 1-line block ×4, first 2 shown]
	ds_load_b128 v[20:23], v28 offset:1792
	ds_load_b128 v[24:27], v28 offset:2688
	s_waitcnt lgkmcnt(0)
	s_barrier
	buffer_gl0_inv
	scratch_load_b32 v57, off, off offset:376 ; 4-byte Folded Reload
	s_waitcnt vmcnt(0)
	ds_store_b128 v57, v[0:3]
	ds_store_b128 v57, v[12:15] offset:128
	ds_store_b128 v57, v[16:19] offset:256
	v_add_f64 v[0:1], v[29:30], v[45:46]
	v_add_f64 v[16:17], v[29:30], -v[45:46]
	s_delay_alu instid0(VALU_DEP_2) | instskip(SKIP_2) | instid1(VALU_DEP_2)
	v_fma_f64 v[12:13], v[0:1], -0.5, v[8:9]
	v_add_f64 v[0:1], v[31:32], v[47:48]
	v_add_f64 v[8:9], v[8:9], v[29:30]
	v_fma_f64 v[14:15], v[0:1], -0.5, v[10:11]
	v_add_f64 v[0:1], v[10:11], v[31:32]
	v_add_f64 v[10:11], v[31:32], -v[47:48]
	s_delay_alu instid0(VALU_DEP_2) | instskip(SKIP_1) | instid1(VALU_DEP_3)
	v_add_f64 v[2:3], v[0:1], v[47:48]
	v_add_f64 v[0:1], v[8:9], v[45:46]
	v_fma_f64 v[8:9], v[10:11], s[2:3], v[12:13]
	v_fma_f64 v[12:13], v[10:11], s[10:11], v[12:13]
	v_fma_f64 v[10:11], v[16:17], s[10:11], v[14:15]
	v_fma_f64 v[14:15], v[16:17], s[2:3], v[14:15]
	scratch_load_b32 v16, off, off offset:372 ; 4-byte Folded Reload
	s_waitcnt vmcnt(0)
	ds_store_b128 v16, v[0:3]
	ds_store_b128 v16, v[8:11] offset:128
	ds_store_b128 v16, v[12:15] offset:256
	v_add_f64 v[0:1], v[33:34], v[49:50]
	v_add_f64 v[8:9], v[20:21], v[33:34]
	v_add_f64 v[12:13], v[35:36], -v[51:52]
	v_add_f64 v[16:17], v[33:34], -v[49:50]
	s_delay_alu instid0(VALU_DEP_4) | instskip(SKIP_1) | instid1(VALU_DEP_1)
	v_fma_f64 v[10:11], v[0:1], -0.5, v[20:21]
	v_add_f64 v[0:1], v[35:36], v[51:52]
	v_fma_f64 v[14:15], v[0:1], -0.5, v[22:23]
	v_add_f64 v[0:1], v[22:23], v[35:36]
	s_delay_alu instid0(VALU_DEP_1)
	v_add_f64 v[2:3], v[0:1], v[51:52]
	v_add_f64 v[0:1], v[8:9], v[49:50]
	v_fma_f64 v[8:9], v[12:13], s[2:3], v[10:11]
	v_fma_f64 v[12:13], v[12:13], s[10:11], v[10:11]
	;; [unrolled: 1-line block ×4, first 2 shown]
	scratch_load_b32 v16, off, off offset:364 ; 4-byte Folded Reload
	s_waitcnt vmcnt(0)
	ds_store_b128 v16, v[0:3]
	ds_store_b128 v16, v[8:11] offset:128
	ds_store_b128 v16, v[12:15] offset:256
	v_add_f64 v[0:1], v[37:38], v[53:54]
	v_add_f64 v[8:9], v[24:25], v[37:38]
	v_add_f64 v[12:13], v[39:40], -v[60:61]
	v_add_f64 v[16:17], v[37:38], -v[53:54]
	s_delay_alu instid0(VALU_DEP_4) | instskip(SKIP_1) | instid1(VALU_DEP_1)
	v_fma_f64 v[10:11], v[0:1], -0.5, v[24:25]
	v_add_f64 v[0:1], v[39:40], v[60:61]
	v_fma_f64 v[14:15], v[0:1], -0.5, v[26:27]
	v_add_f64 v[0:1], v[26:27], v[39:40]
	s_delay_alu instid0(VALU_DEP_1)
	v_add_f64 v[2:3], v[0:1], v[60:61]
	v_add_f64 v[0:1], v[8:9], v[53:54]
	v_fma_f64 v[8:9], v[12:13], s[2:3], v[10:11]
	v_fma_f64 v[12:13], v[12:13], s[10:11], v[10:11]
	;; [unrolled: 1-line block ×4, first 2 shown]
	scratch_load_b32 v16, off, off offset:360 ; 4-byte Folded Reload
	s_waitcnt vmcnt(0)
	ds_store_b128 v16, v[0:3]
	ds_store_b128 v16, v[8:11] offset:128
	ds_store_b128 v16, v[12:15] offset:256
	v_add_f64 v[0:1], v[41:42], v[62:63]
	v_add_f64 v[12:13], v[41:42], -v[62:63]
	s_delay_alu instid0(VALU_DEP_2) | instskip(SKIP_2) | instid1(VALU_DEP_2)
	v_fma_f64 v[8:9], v[0:1], -0.5, v[4:5]
	v_add_f64 v[0:1], v[43:44], v[55:56]
	v_add_f64 v[4:5], v[4:5], v[41:42]
	v_fma_f64 v[10:11], v[0:1], -0.5, v[6:7]
	v_add_f64 v[0:1], v[6:7], v[43:44]
	v_add_f64 v[6:7], v[43:44], -v[55:56]
	s_delay_alu instid0(VALU_DEP_2) | instskip(SKIP_1) | instid1(VALU_DEP_3)
	v_add_f64 v[2:3], v[0:1], v[55:56]
	v_add_f64 v[0:1], v[4:5], v[62:63]
	v_fma_f64 v[4:5], v[6:7], s[2:3], v[8:9]
	v_fma_f64 v[8:9], v[6:7], s[10:11], v[8:9]
	;; [unrolled: 1-line block ×4, first 2 shown]
	scratch_load_b32 v12, off, off offset:352 ; 4-byte Folded Reload
	s_mov_b32 s2, 0x4755a5e
	s_mov_b32 s3, 0xbfe2cf23
	;; [unrolled: 1-line block ×4, first 2 shown]
	s_waitcnt vmcnt(0)
	ds_store_b128 v12, v[0:3]
	ds_store_b128 v12, v[4:7] offset:128
	ds_store_b128 v12, v[8:11] offset:256
	s_waitcnt lgkmcnt(0)
	s_barrier
	buffer_gl0_inv
	ds_load_b128 v[56:59], v28 offset:2688
	ds_load_b128 v[0:3], v28 offset:1792
	s_waitcnt lgkmcnt(1)
	v_mul_f64 v[4:5], v[70:71], v[58:59]
	s_delay_alu instid0(VALU_DEP_1) | instskip(SKIP_1) | instid1(VALU_DEP_1)
	v_fma_f64 v[24:25], v[68:69], v[56:57], v[4:5]
	v_mul_f64 v[4:5], v[70:71], v[56:57]
	v_fma_f64 v[26:27], v[68:69], v[58:59], -v[4:5]
	ds_load_b128 v[4:7], v28 offset:5376
	ds_load_b128 v[8:11], v28 offset:6272
	scratch_load_b128 v[14:17], off, off offset:252 ; 16-byte Folded Reload
	s_waitcnt vmcnt(0) lgkmcnt(1)
	v_mul_f64 v[12:13], v[16:17], v[6:7]
	s_delay_alu instid0(VALU_DEP_1) | instskip(SKIP_1) | instid1(VALU_DEP_1)
	v_fma_f64 v[29:30], v[14:15], v[4:5], v[12:13]
	v_mul_f64 v[4:5], v[16:17], v[4:5]
	v_fma_f64 v[31:32], v[14:15], v[6:7], -v[4:5]
	ds_load_b128 v[4:7], v28 offset:10752
	ds_load_b128 v[12:15], v28 offset:11648
	s_waitcnt lgkmcnt(1)
	v_mul_f64 v[16:17], v[110:111], v[6:7]
	s_delay_alu instid0(VALU_DEP_1) | instskip(SKIP_1) | instid1(VALU_DEP_2)
	v_fma_f64 v[33:34], v[108:109], v[4:5], v[16:17]
	v_mul_f64 v[4:5], v[110:111], v[4:5]
	v_add_f64 v[88:89], v[24:25], -v[33:34]
	s_delay_alu instid0(VALU_DEP_2)
	v_fma_f64 v[35:36], v[108:109], v[6:7], -v[4:5]
	ds_load_b128 v[4:7], v28 offset:8064
	ds_load_b128 v[16:19], v28 offset:7168
	s_waitcnt lgkmcnt(1)
	v_mul_f64 v[20:21], v[106:107], v[6:7]
	v_add_f64 v[84:85], v[26:27], -v[35:36]
	s_delay_alu instid0(VALU_DEP_2) | instskip(SKIP_1) | instid1(VALU_DEP_2)
	v_fma_f64 v[37:38], v[104:105], v[4:5], v[20:21]
	v_mul_f64 v[4:5], v[106:107], v[4:5]
	v_add_f64 v[86:87], v[29:30], -v[37:38]
	s_delay_alu instid0(VALU_DEP_2)
	v_fma_f64 v[39:40], v[104:105], v[6:7], -v[4:5]
	ds_load_b128 v[4:7], v28 offset:3584
	ds_load_b128 v[20:23], v28 offset:4480
	s_waitcnt lgkmcnt(1)
	v_mul_f64 v[41:42], v[122:123], v[6:7]
	v_add_f64 v[78:79], v[31:32], -v[39:40]
	s_delay_alu instid0(VALU_DEP_2) | instskip(SKIP_1) | instid1(VALU_DEP_1)
	v_fma_f64 v[41:42], v[120:121], v[4:5], v[41:42]
	v_mul_f64 v[4:5], v[122:123], v[4:5]
	v_fma_f64 v[43:44], v[120:121], v[6:7], -v[4:5]
	v_mul_f64 v[4:5], v[114:115], v[10:11]
	s_delay_alu instid0(VALU_DEP_1) | instskip(SKIP_1) | instid1(VALU_DEP_1)
	v_fma_f64 v[45:46], v[112:113], v[8:9], v[4:5]
	v_mul_f64 v[4:5], v[114:115], v[8:9]
	v_fma_f64 v[47:48], v[112:113], v[10:11], -v[4:5]
	ds_load_b128 v[4:7], v28 offset:8960
	ds_load_b128 v[8:11], v28 offset:9856
	s_waitcnt lgkmcnt(1)
	v_mul_f64 v[49:50], v[126:127], v[6:7]
	s_delay_alu instid0(VALU_DEP_1) | instskip(SKIP_1) | instid1(VALU_DEP_1)
	v_fma_f64 v[49:50], v[124:125], v[4:5], v[49:50]
	v_mul_f64 v[4:5], v[126:127], v[4:5]
	v_fma_f64 v[51:52], v[124:125], v[6:7], -v[4:5]
	v_mul_f64 v[4:5], v[118:119], v[14:15]
	s_delay_alu instid0(VALU_DEP_1) | instskip(SKIP_2) | instid1(VALU_DEP_2)
	v_fma_f64 v[53:54], v[116:117], v[12:13], v[4:5]
	v_mul_f64 v[4:5], v[118:119], v[12:13]
	v_add_f64 v[12:13], v[24:25], v[33:34]
	v_fma_f64 v[55:56], v[116:117], v[14:15], -v[4:5]
	v_mul_f64 v[4:5], v[138:139], v[22:23]
	s_delay_alu instid0(VALU_DEP_1) | instskip(SKIP_1) | instid1(VALU_DEP_1)
	v_fma_f64 v[57:58], v[136:137], v[20:21], v[4:5]
	v_mul_f64 v[4:5], v[138:139], v[20:21]
	v_fma_f64 v[59:60], v[136:137], v[22:23], -v[4:5]
	v_mul_f64 v[4:5], v[130:131], v[18:19]
	s_delay_alu instid0(VALU_DEP_1) | instskip(SKIP_1) | instid1(VALU_DEP_1)
	v_fma_f64 v[61:62], v[128:129], v[16:17], v[4:5]
	v_mul_f64 v[4:5], v[130:131], v[16:17]
	v_fma_f64 v[63:64], v[128:129], v[18:19], -v[4:5]
	s_waitcnt lgkmcnt(0)
	v_mul_f64 v[4:5], v[142:143], v[10:11]
	s_delay_alu instid0(VALU_DEP_1) | instskip(SKIP_1) | instid1(VALU_DEP_1)
	v_fma_f64 v[65:66], v[140:141], v[8:9], v[4:5]
	v_mul_f64 v[4:5], v[142:143], v[8:9]
	v_fma_f64 v[67:68], v[140:141], v[10:11], -v[4:5]
	ds_load_b128 v[4:7], v28 offset:12544
	s_waitcnt lgkmcnt(0)
	v_mul_f64 v[8:9], v[134:135], v[6:7]
	s_delay_alu instid0(VALU_DEP_1) | instskip(SKIP_1) | instid1(VALU_DEP_1)
	v_fma_f64 v[69:70], v[132:133], v[4:5], v[8:9]
	v_mul_f64 v[4:5], v[134:135], v[4:5]
	v_fma_f64 v[76:77], v[132:133], v[6:7], -v[4:5]
	v_add_f64 v[4:5], v[29:30], -v[24:25]
	v_add_f64 v[6:7], v[37:38], -v[33:34]
	s_delay_alu instid0(VALU_DEP_1) | instskip(SKIP_2) | instid1(VALU_DEP_1)
	v_add_f64 v[16:17], v[4:5], v[6:7]
	v_add_f64 v[4:5], v[31:32], -v[26:27]
	v_add_f64 v[6:7], v[39:40], -v[35:36]
	v_add_f64 v[18:19], v[4:5], v[6:7]
	ds_load_b128 v[4:7], v28
	ds_load_b128 v[8:11], v28 offset:896
	s_waitcnt lgkmcnt(0)
	s_barrier
	buffer_gl0_inv
	v_fma_f64 v[20:21], v[12:13], -0.5, v[4:5]
	v_add_f64 v[12:13], v[26:27], v[35:36]
	s_delay_alu instid0(VALU_DEP_1) | instskip(NEXT) | instid1(VALU_DEP_3)
	v_fma_f64 v[22:23], v[12:13], -0.5, v[6:7]
	v_fma_f64 v[12:13], v[78:79], s[14:15], v[20:21]
	v_fma_f64 v[20:21], v[78:79], s[12:13], v[20:21]
	s_delay_alu instid0(VALU_DEP_3) | instskip(NEXT) | instid1(VALU_DEP_3)
	v_fma_f64 v[14:15], v[86:87], s[12:13], v[22:23]
	v_fma_f64 v[12:13], v[84:85], s[2:3], v[12:13]
	s_delay_alu instid0(VALU_DEP_3) | instskip(SKIP_1) | instid1(VALU_DEP_4)
	v_fma_f64 v[20:21], v[84:85], s[10:11], v[20:21]
	v_fma_f64 v[22:23], v[86:87], s[14:15], v[22:23]
	;; [unrolled: 1-line block ×3, first 2 shown]
	s_delay_alu instid0(VALU_DEP_4) | instskip(NEXT) | instid1(VALU_DEP_4)
	v_fma_f64 v[12:13], v[16:17], s[16:17], v[12:13]
	v_fma_f64 v[16:17], v[16:17], s[16:17], v[20:21]
	v_add_f64 v[20:21], v[29:30], v[37:38]
	v_fma_f64 v[22:23], v[88:89], s[2:3], v[22:23]
	v_fma_f64 v[14:15], v[18:19], s[16:17], v[14:15]
	s_delay_alu instid0(VALU_DEP_3) | instskip(SKIP_1) | instid1(VALU_DEP_4)
	v_fma_f64 v[20:21], v[20:21], -0.5, v[4:5]
	v_add_f64 v[4:5], v[4:5], v[24:25]
	v_fma_f64 v[18:19], v[18:19], s[16:17], v[22:23]
	v_add_f64 v[22:23], v[31:32], v[39:40]
	v_add_f64 v[24:25], v[24:25], -v[29:30]
	s_delay_alu instid0(VALU_DEP_4) | instskip(SKIP_1) | instid1(VALU_DEP_4)
	v_add_f64 v[4:5], v[4:5], v[29:30]
	v_add_f64 v[29:30], v[33:34], -v[37:38]
	v_fma_f64 v[22:23], v[22:23], -0.5, v[6:7]
	v_add_f64 v[6:7], v[6:7], v[26:27]
	v_add_f64 v[26:27], v[26:27], -v[31:32]
	v_add_f64 v[4:5], v[4:5], v[37:38]
	v_add_f64 v[24:25], v[24:25], v[29:30]
	s_delay_alu instid0(VALU_DEP_4) | instskip(SKIP_1) | instid1(VALU_DEP_4)
	v_add_f64 v[6:7], v[6:7], v[31:32]
	v_add_f64 v[31:32], v[35:36], -v[39:40]
	v_add_f64 v[4:5], v[4:5], v[33:34]
	v_fma_f64 v[33:34], v[84:85], s[12:13], v[20:21]
	v_fma_f64 v[20:21], v[84:85], s[14:15], v[20:21]
	v_add_f64 v[6:7], v[6:7], v[39:40]
	v_add_f64 v[26:27], v[26:27], v[31:32]
	v_add_f64 v[39:40], v[59:60], -v[76:77]
	v_fma_f64 v[29:30], v[78:79], s[2:3], v[33:34]
	v_fma_f64 v[31:32], v[78:79], s[10:11], v[20:21]
	v_add_f64 v[6:7], v[6:7], v[35:36]
	v_fma_f64 v[35:36], v[88:89], s[14:15], v[22:23]
	v_fma_f64 v[22:23], v[88:89], s[12:13], v[22:23]
	;; [unrolled: 1-line block ×3, first 2 shown]
	scratch_load_b32 v29, off, off offset:380 ; 4-byte Folded Reload
	v_fma_f64 v[24:25], v[24:25], s[16:17], v[31:32]
	v_fma_f64 v[33:34], v[86:87], s[10:11], v[35:36]
	;; [unrolled: 1-line block ×3, first 2 shown]
	v_add_f64 v[31:32], v[47:48], -v[43:44]
	s_delay_alu instid0(VALU_DEP_3) | instskip(NEXT) | instid1(VALU_DEP_3)
	v_fma_f64 v[22:23], v[26:27], s[16:17], v[33:34]
	v_fma_f64 v[26:27], v[26:27], s[16:17], v[35:36]
	v_add_f64 v[33:34], v[49:50], -v[53:54]
	v_add_f64 v[35:36], v[51:52], -v[55:56]
	s_waitcnt vmcnt(0)
	ds_store_b128 v29, v[4:7]
	ds_store_b128 v29, v[20:23] offset:384
	ds_store_b128 v29, v[12:15] offset:768
	;; [unrolled: 1-line block ×4, first 2 shown]
	v_add_f64 v[4:5], v[41:42], -v[45:46]
	v_add_f64 v[6:7], v[53:54], -v[49:50]
	;; [unrolled: 1-line block ×7, first 2 shown]
	v_add_f64 v[12:13], v[4:5], v[6:7]
	v_add_f64 v[4:5], v[43:44], -v[47:48]
	v_add_f64 v[6:7], v[55:56], -v[51:52]
	s_delay_alu instid0(VALU_DEP_1) | instskip(SKIP_1) | instid1(VALU_DEP_1)
	v_add_f64 v[14:15], v[4:5], v[6:7]
	v_add_f64 v[4:5], v[45:46], v[49:50]
	v_fma_f64 v[16:17], v[4:5], -0.5, v[8:9]
	v_add_f64 v[4:5], v[47:48], v[51:52]
	s_delay_alu instid0(VALU_DEP_1) | instskip(NEXT) | instid1(VALU_DEP_3)
	v_fma_f64 v[18:19], v[4:5], -0.5, v[10:11]
	v_fma_f64 v[4:5], v[20:21], s[12:13], v[16:17]
	v_fma_f64 v[16:17], v[20:21], s[14:15], v[16:17]
	s_delay_alu instid0(VALU_DEP_3) | instskip(SKIP_1) | instid1(VALU_DEP_4)
	v_fma_f64 v[6:7], v[24:25], s[14:15], v[18:19]
	v_fma_f64 v[18:19], v[24:25], s[12:13], v[18:19]
	;; [unrolled: 1-line block ×3, first 2 shown]
	s_delay_alu instid0(VALU_DEP_4) | instskip(NEXT) | instid1(VALU_DEP_4)
	v_fma_f64 v[16:17], v[22:23], s[10:11], v[16:17]
	v_fma_f64 v[6:7], v[26:27], s[10:11], v[6:7]
	s_delay_alu instid0(VALU_DEP_4) | instskip(NEXT) | instid1(VALU_DEP_4)
	v_fma_f64 v[18:19], v[26:27], s[2:3], v[18:19]
	v_fma_f64 v[4:5], v[12:13], s[16:17], v[4:5]
	s_delay_alu instid0(VALU_DEP_4) | instskip(SKIP_4) | instid1(VALU_DEP_4)
	v_fma_f64 v[12:13], v[12:13], s[16:17], v[16:17]
	v_add_f64 v[16:17], v[41:42], v[53:54]
	v_fma_f64 v[6:7], v[14:15], s[16:17], v[6:7]
	v_fma_f64 v[14:15], v[14:15], s[16:17], v[18:19]
	v_add_f64 v[18:19], v[43:44], v[55:56]
	v_fma_f64 v[16:17], v[16:17], -0.5, v[8:9]
	v_add_f64 v[8:9], v[8:9], v[41:42]
	v_add_f64 v[41:42], v[61:62], -v[65:66]
	s_delay_alu instid0(VALU_DEP_4)
	v_fma_f64 v[18:19], v[18:19], -0.5, v[10:11]
	v_add_f64 v[10:11], v[10:11], v[43:44]
	v_fma_f64 v[37:38], v[22:23], s[14:15], v[16:17]
	v_fma_f64 v[16:17], v[22:23], s[12:13], v[16:17]
	v_add_f64 v[43:44], v[57:58], -v[69:70]
	v_add_f64 v[8:9], v[8:9], v[45:46]
	v_add_f64 v[45:46], v[57:58], -v[61:62]
	v_fma_f64 v[22:23], v[26:27], s[12:13], v[18:19]
	v_fma_f64 v[18:19], v[26:27], s[14:15], v[18:19]
	v_add_f64 v[26:27], v[29:30], v[33:34]
	v_add_f64 v[29:30], v[31:32], v[35:36]
	v_fma_f64 v[31:32], v[20:21], s[2:3], v[37:38]
	v_fma_f64 v[20:21], v[20:21], s[10:11], v[16:17]
	v_add_f64 v[37:38], v[63:64], -v[67:68]
	v_add_f64 v[8:9], v[8:9], v[49:50]
	v_add_f64 v[10:11], v[10:11], v[47:48]
	v_add_f64 v[49:50], v[69:70], -v[65:66]
	v_add_f64 v[47:48], v[59:60], -v[63:64]
	v_fma_f64 v[22:23], v[24:25], s[10:11], v[22:23]
	v_fma_f64 v[24:25], v[24:25], s[2:3], v[18:19]
	;; [unrolled: 1-line block ×4, first 2 shown]
	v_add_f64 v[26:27], v[65:66], -v[69:70]
	v_add_f64 v[8:9], v[8:9], v[53:54]
	v_add_f64 v[10:11], v[10:11], v[51:52]
	v_add_f64 v[51:52], v[76:77], -v[67:68]
	v_fma_f64 v[18:19], v[29:30], s[16:17], v[22:23]
	v_fma_f64 v[22:23], v[29:30], s[16:17], v[24:25]
	v_add_f64 v[24:25], v[61:62], -v[57:58]
	v_add_f64 v[10:11], v[10:11], v[55:56]
	s_delay_alu instid0(VALU_DEP_2) | instskip(SKIP_2) | instid1(VALU_DEP_1)
	v_add_f64 v[29:30], v[24:25], v[26:27]
	v_add_f64 v[24:25], v[63:64], -v[59:60]
	v_add_f64 v[26:27], v[67:68], -v[76:77]
	v_add_f64 v[31:32], v[24:25], v[26:27]
	v_add_f64 v[24:25], v[57:58], v[69:70]
	s_delay_alu instid0(VALU_DEP_1) | instskip(SKIP_1) | instid1(VALU_DEP_1)
	v_fma_f64 v[33:34], v[24:25], -0.5, v[0:1]
	v_add_f64 v[24:25], v[59:60], v[76:77]
	v_fma_f64 v[35:36], v[24:25], -0.5, v[2:3]
	s_delay_alu instid0(VALU_DEP_3) | instskip(SKIP_1) | instid1(VALU_DEP_3)
	v_fma_f64 v[24:25], v[37:38], s[14:15], v[33:34]
	v_fma_f64 v[33:34], v[37:38], s[12:13], v[33:34]
	;; [unrolled: 1-line block ×3, first 2 shown]
	s_delay_alu instid0(VALU_DEP_3) | instskip(SKIP_1) | instid1(VALU_DEP_4)
	v_fma_f64 v[24:25], v[39:40], s[2:3], v[24:25]
	v_fma_f64 v[35:36], v[41:42], s[14:15], v[35:36]
	v_fma_f64 v[33:34], v[39:40], s[10:11], v[33:34]
	s_delay_alu instid0(VALU_DEP_4) | instskip(NEXT) | instid1(VALU_DEP_4)
	v_fma_f64 v[26:27], v[43:44], s[10:11], v[26:27]
	v_fma_f64 v[24:25], v[29:30], s[16:17], v[24:25]
	s_delay_alu instid0(VALU_DEP_4) | instskip(NEXT) | instid1(VALU_DEP_4)
	v_fma_f64 v[35:36], v[43:44], s[2:3], v[35:36]
	v_fma_f64 v[29:30], v[29:30], s[16:17], v[33:34]
	v_add_f64 v[33:34], v[61:62], v[65:66]
	v_fma_f64 v[26:27], v[31:32], s[16:17], v[26:27]
	s_delay_alu instid0(VALU_DEP_4) | instskip(SKIP_1) | instid1(VALU_DEP_4)
	v_fma_f64 v[31:32], v[31:32], s[16:17], v[35:36]
	v_add_f64 v[35:36], v[63:64], v[67:68]
	v_fma_f64 v[33:34], v[33:34], -0.5, v[0:1]
	v_add_f64 v[0:1], v[0:1], v[57:58]
	s_delay_alu instid0(VALU_DEP_3) | instskip(NEXT) | instid1(VALU_DEP_3)
	v_fma_f64 v[35:36], v[35:36], -0.5, v[2:3]
	v_fma_f64 v[53:54], v[39:40], s[12:13], v[33:34]
	v_fma_f64 v[33:34], v[39:40], s[14:15], v[33:34]
	v_add_f64 v[2:3], v[2:3], v[59:60]
	v_add_f64 v[0:1], v[0:1], v[61:62]
	v_fma_f64 v[39:40], v[43:44], s[14:15], v[35:36]
	v_fma_f64 v[35:36], v[43:44], s[12:13], v[35:36]
	v_add_f64 v[43:44], v[45:46], v[49:50]
	v_fma_f64 v[33:34], v[37:38], s[10:11], v[33:34]
	v_add_f64 v[2:3], v[2:3], v[63:64]
	v_add_f64 v[0:1], v[0:1], v[65:66]
	;; [unrolled: 1-line block ×3, first 2 shown]
	v_fma_f64 v[47:48], v[37:38], s[2:3], v[53:54]
	v_fma_f64 v[38:39], v[41:42], s[10:11], v[39:40]
	;; [unrolled: 1-line block ×4, first 2 shown]
	scratch_load_b32 v33, off, off offset:368 ; 4-byte Folded Reload
	v_add_f64 v[2:3], v[2:3], v[67:68]
	v_add_f64 v[0:1], v[0:1], v[69:70]
	v_fma_f64 v[36:37], v[43:44], s[16:17], v[47:48]
	s_waitcnt vmcnt(0)
	ds_store_b128 v33, v[8:11]
	ds_store_b128 v33, v[4:7] offset:384
	ds_store_b128 v33, v[16:19] offset:768
	;; [unrolled: 1-line block ×4, first 2 shown]
	scratch_load_b32 v4, off, off offset:356 ; 4-byte Folded Reload
	v_add_f64 v[2:3], v[2:3], v[76:77]
	v_fma_f64 v[38:39], v[45:46], s[16:17], v[38:39]
	v_fma_f64 v[58:59], v[45:46], s[16:17], v[40:41]
	s_waitcnt vmcnt(0)
	ds_store_b128 v4, v[0:3]
	ds_store_b128 v4, v[36:39] offset:384
	ds_store_b128 v4, v[24:27] offset:768
	;; [unrolled: 1-line block ×4, first 2 shown]
	s_waitcnt lgkmcnt(0)
	s_barrier
	buffer_gl0_inv
	ds_load_b128 v[64:67], v28
	ds_load_b128 v[60:63], v28 offset:896
	ds_load_b128 v[128:131], v28 offset:1920
	;; [unrolled: 1-line block ×13, first 2 shown]
	s_and_saveexec_b32 s1, s0
	s_cbranch_execz .LBB0_35
; %bb.34:
	ds_load_b128 v[56:59], v28 offset:1792
	ds_load_b128 v[72:75], v28 offset:3712
	;; [unrolled: 1-line block ×7, first 2 shown]
.LBB0_35:
	s_or_b32 exec_lo, exec_lo, s1
	s_waitcnt lgkmcnt(11)
	v_mul_f64 v[0:1], v[146:147], v[130:131]
	v_mul_f64 v[2:3], v[146:147], v[128:129]
	s_waitcnt lgkmcnt(9)
	v_mul_f64 v[4:5], v[150:151], v[134:135]
	v_mul_f64 v[6:7], v[150:151], v[132:133]
	;; [unrolled: 3-line block ×3, first 2 shown]
	v_mul_f64 v[12:13], v[162:163], v[138:139]
	v_mul_f64 v[14:15], v[162:163], v[136:137]
	;; [unrolled: 1-line block ×6, first 2 shown]
	s_waitcnt lgkmcnt(0)
	v_mul_f64 v[24:25], v[182:183], v[126:127]
	v_mul_f64 v[26:27], v[182:183], v[124:125]
	;; [unrolled: 1-line block ×12, first 2 shown]
	s_mov_b32 s14, 0x37e14327
	s_mov_b32 s16, 0xe976ee23
	;; [unrolled: 1-line block ×14, first 2 shown]
	v_fma_f64 v[0:1], v[144:145], v[128:129], v[0:1]
	v_fma_f64 v[2:3], v[144:145], v[130:131], -v[2:3]
	v_fma_f64 v[4:5], v[148:149], v[132:133], v[4:5]
	v_fma_f64 v[6:7], v[148:149], v[134:135], -v[6:7]
	;; [unrolled: 2-line block ×12, first 2 shown]
	s_mov_b32 s21, 0xbfe77f67
	s_mov_b32 s20, s18
	;; [unrolled: 1-line block ×6, first 2 shown]
	v_add_f64 v[49:50], v[0:1], v[8:9]
	v_add_f64 v[51:52], v[2:3], v[10:11]
	;; [unrolled: 1-line block ×4, first 2 shown]
	v_add_f64 v[4:5], v[4:5], -v[12:13]
	v_add_f64 v[6:7], v[6:7], -v[14:15]
	;; [unrolled: 1-line block ×4, first 2 shown]
	v_add_f64 v[68:69], v[16:17], v[24:25]
	v_add_f64 v[70:71], v[18:19], v[26:27]
	;; [unrolled: 1-line block ×4, first 2 shown]
	v_add_f64 v[20:21], v[20:21], -v[29:30]
	v_add_f64 v[22:23], v[22:23], -v[31:32]
	v_add_f64 v[86:87], v[33:34], v[37:38]
	v_add_f64 v[88:89], v[35:36], v[39:40]
	v_add_f64 v[12:13], v[37:38], -v[33:34]
	v_add_f64 v[14:15], v[39:40], -v[35:36]
	v_add_f64 v[29:30], v[41:42], v[45:46]
	v_add_f64 v[31:32], v[43:44], v[47:48]
	v_add_f64 v[33:34], v[45:46], -v[41:42]
	v_add_f64 v[35:36], v[47:48], -v[43:44]
	;; [unrolled: 1-line block ×4, first 2 shown]
	v_add_f64 v[0:1], v[53:54], v[49:50]
	v_add_f64 v[2:3], v[84:85], v[51:52]
	v_add_f64 v[90:91], v[4:5], -v[8:9]
	v_add_f64 v[92:93], v[6:7], -v[10:11]
	v_add_f64 v[24:25], v[76:77], v[68:69]
	v_add_f64 v[26:27], v[78:79], v[70:71]
	v_add_f64 v[37:38], v[49:50], -v[86:87]
	v_add_f64 v[39:40], v[51:52], -v[88:89]
	;; [unrolled: 1-line block ×14, first 2 shown]
	v_add_f64 v[53:54], v[12:13], v[4:5]
	v_add_f64 v[84:85], v[14:15], v[6:7]
	v_add_f64 v[12:13], v[8:9], -v[12:13]
	v_add_f64 v[14:15], v[10:11], -v[14:15]
	v_add_f64 v[20:21], v[33:34], v[20:21]
	v_add_f64 v[22:23], v[35:36], v[22:23]
	v_add_f64 v[33:34], v[16:17], -v[33:34]
	v_add_f64 v[35:36], v[18:19], -v[35:36]
	v_add_f64 v[86:87], v[86:87], v[0:1]
	v_add_f64 v[88:89], v[88:89], v[2:3]
	v_mul_f64 v[110:111], v[90:91], s[2:3]
	v_mul_f64 v[112:113], v[92:93], s[2:3]
	v_add_f64 v[24:25], v[29:30], v[24:25]
	v_add_f64 v[26:27], v[31:32], v[26:27]
	v_add_f64 v[29:30], v[29:30], -v[76:77]
	v_add_f64 v[31:32], v[31:32], -v[78:79]
	v_mul_f64 v[37:38], v[37:38], s[14:15]
	v_mul_f64 v[39:40], v[39:40], s[14:15]
	;; [unrolled: 1-line block ×6, first 2 shown]
	v_add_f64 v[8:9], v[53:54], v[8:9]
	v_add_f64 v[10:11], v[84:85], v[10:11]
	;; [unrolled: 1-line block ×6, first 2 shown]
	v_mul_f64 v[64:65], v[94:95], s[14:15]
	v_mul_f64 v[66:67], v[96:97], s[14:15]
	;; [unrolled: 1-line block ×6, first 2 shown]
	v_add_f64 v[4:5], v[60:61], v[24:25]
	v_add_f64 v[6:7], v[62:63], v[26:27]
	v_add_f64 v[60:61], v[76:77], -v[68:69]
	v_add_f64 v[62:63], v[78:79], -v[70:71]
	v_mul_f64 v[68:69], v[29:30], s[10:11]
	v_mul_f64 v[70:71], v[31:32], s[10:11]
	v_fma_f64 v[20:21], v[41:42], s[10:11], v[37:38]
	v_fma_f64 v[22:23], v[43:44], s[10:11], v[39:40]
	;; [unrolled: 1-line block ×4, first 2 shown]
	v_fma_f64 v[41:42], v[49:50], s[18:19], -v[106:107]
	v_fma_f64 v[43:44], v[51:52], s[18:19], -v[108:109]
	;; [unrolled: 1-line block ×8, first 2 shown]
	v_fma_f64 v[78:79], v[86:87], s[12:13], v[0:1]
	v_fma_f64 v[84:85], v[88:89], s[12:13], v[2:3]
	;; [unrolled: 1-line block ×6, first 2 shown]
	v_fma_f64 v[86:87], v[102:103], s[2:3], -v[94:95]
	v_fma_f64 v[88:89], v[104:105], s[2:3], -v[96:97]
	v_fma_f64 v[24:25], v[24:25], s[12:13], v[4:5]
	v_fma_f64 v[26:27], v[26:27], s[12:13], v[6:7]
	v_fma_f64 v[33:34], v[33:34], s[24:25], -v[98:99]
	v_fma_f64 v[35:36], v[35:36], s[24:25], -v[100:101]
	;; [unrolled: 1-line block ×6, first 2 shown]
	v_fma_f64 v[53:54], v[8:9], s[26:27], v[53:54]
	v_fma_f64 v[68:69], v[10:11], s[26:27], v[76:77]
	;; [unrolled: 1-line block ×6, first 2 shown]
	v_add_f64 v[90:91], v[20:21], v[78:79]
	v_add_f64 v[92:93], v[22:23], v[84:85]
	v_add_f64 v[37:38], v[37:38], v[78:79]
	v_add_f64 v[39:40], v[39:40], v[84:85]
	v_add_f64 v[20:21], v[41:42], v[78:79]
	v_add_f64 v[22:23], v[43:44], v[84:85]
	v_fma_f64 v[78:79], v[16:17], s[26:27], v[49:50]
	v_fma_f64 v[84:85], v[18:19], s[26:27], v[51:52]
	v_add_f64 v[94:95], v[29:30], v[24:25]
	v_add_f64 v[96:97], v[31:32], v[26:27]
	v_fma_f64 v[49:50], v[16:17], s[26:27], v[86:87]
	v_fma_f64 v[51:52], v[18:19], s[26:27], v[88:89]
	v_fma_f64 v[86:87], v[16:17], s[26:27], v[33:34]
	v_fma_f64 v[88:89], v[18:19], s[26:27], v[35:36]
	v_add_f64 v[64:65], v[64:65], v[24:25]
	v_add_f64 v[66:67], v[66:67], v[26:27]
	;; [unrolled: 1-line block ×5, first 2 shown]
	v_add_f64 v[10:11], v[92:93], -v[53:54]
	v_add_f64 v[12:13], v[76:77], v[37:38]
	v_add_f64 v[14:15], v[39:40], -v[70:71]
	v_add_f64 v[24:25], v[37:38], -v[76:77]
	v_add_f64 v[26:27], v[70:71], v[39:40]
	v_add_f64 v[16:17], v[20:21], -v[47:48]
	v_add_f64 v[18:19], v[45:46], v[22:23]
	v_add_f64 v[33:34], v[84:85], v[94:95]
	v_add_f64 v[35:36], v[96:97], -v[78:79]
	v_add_f64 v[20:21], v[47:48], v[20:21]
	v_add_f64 v[22:23], v[22:23], -v[45:46]
	v_add_f64 v[29:30], v[90:91], -v[68:69]
	v_add_f64 v[31:32], v[53:54], v[92:93]
	v_add_f64 v[37:38], v[88:89], v[64:65]
	v_add_f64 v[39:40], v[66:67], -v[86:87]
	v_add_f64 v[41:42], v[60:61], -v[51:52]
	v_add_f64 v[43:44], v[49:50], v[62:63]
	v_add_f64 v[45:46], v[51:52], v[60:61]
	v_add_f64 v[47:48], v[62:63], -v[49:50]
	v_add_f64 v[49:50], v[64:65], -v[88:89]
	v_add_f64 v[51:52], v[86:87], v[66:67]
	v_add_f64 v[60:61], v[94:95], -v[84:85]
	v_add_f64 v[62:63], v[78:79], v[96:97]
	ds_store_b128 v28, v[0:3]
	ds_store_b128 v28, v[4:7] offset:896
	ds_store_b128 v28, v[8:11] offset:1920
	;; [unrolled: 1-line block ×13, first 2 shown]
	s_and_saveexec_b32 s1, s0
	s_cbranch_execz .LBB0_37
; %bb.36:
	s_clause 0x4
	scratch_load_b128 v[33:36], off, off offset:428
	scratch_load_b128 v[37:40], off, off offset:444
	;; [unrolled: 1-line block ×5, first 2 shown]
	s_waitcnt vmcnt(4)
	v_mul_f64 v[0:1], v[35:36], v[208:209]
	s_waitcnt vmcnt(3)
	v_mul_f64 v[4:5], v[39:40], v[204:205]
	v_mul_f64 v[14:15], v[39:40], v[206:207]
	scratch_load_b128 v[39:42], off, off offset:460 ; 16-byte Folded Reload
	s_waitcnt vmcnt(3)
	v_mul_f64 v[2:3], v[26:27], v[72:73]
	s_waitcnt vmcnt(2)
	v_mul_f64 v[6:7], v[31:32], v[200:201]
	v_mul_f64 v[8:9], v[26:27], v[74:75]
	;; [unrolled: 1-line block ×4, first 2 shown]
	s_waitcnt vmcnt(1)
	v_mul_f64 v[16:17], v[45:46], v[82:83]
	v_mul_f64 v[22:23], v[45:46], v[80:81]
	v_fma_f64 v[0:1], v[33:34], v[210:211], -v[0:1]
	v_fma_f64 v[4:5], v[37:38], v[206:207], -v[4:5]
	v_fma_f64 v[14:15], v[37:38], v[204:205], v[14:15]
	v_fma_f64 v[2:3], v[24:25], v[74:75], -v[2:3]
	v_fma_f64 v[6:7], v[29:30], v[202:203], -v[6:7]
	v_fma_f64 v[8:9], v[24:25], v[72:73], v[8:9]
	v_fma_f64 v[10:11], v[33:34], v[208:209], v[10:11]
	;; [unrolled: 1-line block ×4, first 2 shown]
	v_fma_f64 v[22:23], v[43:44], v[82:83], -v[22:23]
	v_add_f64 v[24:25], v[2:3], v[0:1]
	v_add_f64 v[26:27], v[6:7], v[4:5]
	v_add_f64 v[4:5], v[6:7], -v[4:5]
	v_add_f64 v[29:30], v[8:9], v[10:11]
	v_add_f64 v[31:32], v[12:13], v[14:15]
	v_add_f64 v[12:13], v[12:13], -v[14:15]
	v_add_f64 v[8:9], v[8:9], -v[10:11]
	v_add_f64 v[6:7], v[2:3], -v[0:1]
	v_add_f64 v[10:11], v[26:27], v[24:25]
	v_add_f64 v[0:1], v[31:32], v[29:30]
	s_delay_alu instid0(VALU_DEP_4) | instskip(NEXT) | instid1(VALU_DEP_1)
	v_add_f64 v[35:36], v[12:13], -v[8:9]
	v_mul_f64 v[45:46], v[35:36], s[2:3]
	s_waitcnt vmcnt(0)
	v_mul_f64 v[18:19], v[41:42], v[194:195]
	v_mul_f64 v[20:21], v[41:42], v[192:193]
	s_delay_alu instid0(VALU_DEP_2) | instskip(NEXT) | instid1(VALU_DEP_2)
	v_fma_f64 v[18:19], v[39:40], v[192:193], v[18:19]
	v_fma_f64 v[20:21], v[39:40], v[194:195], -v[20:21]
	v_add_f64 v[39:40], v[4:5], -v[6:7]
	s_delay_alu instid0(VALU_DEP_3) | instskip(NEXT) | instid1(VALU_DEP_3)
	v_add_f64 v[33:34], v[16:17], -v[18:19]
	v_add_f64 v[14:15], v[20:21], v[22:23]
	v_add_f64 v[16:17], v[18:19], v[16:17]
	v_add_f64 v[18:19], v[22:23], -v[20:21]
	v_mul_f64 v[47:48], v[39:40], s[2:3]
	v_add_f64 v[2:3], v[33:34], -v[12:13]
	v_add_f64 v[20:21], v[24:25], -v[14:15]
	;; [unrolled: 1-line block ×3, first 2 shown]
	v_add_f64 v[10:11], v[14:15], v[10:11]
	v_add_f64 v[14:15], v[14:15], -v[26:27]
	v_add_f64 v[37:38], v[18:19], -v[4:5]
	v_add_f64 v[41:42], v[16:17], v[0:1]
	v_add_f64 v[16:17], v[16:17], -v[31:32]
	v_add_f64 v[43:44], v[8:9], -v[33:34]
	v_add_f64 v[12:13], v[33:34], v[12:13]
	v_add_f64 v[4:5], v[18:19], v[4:5]
	v_add_f64 v[18:19], v[6:7], -v[18:19]
	v_add_f64 v[24:25], v[26:27], -v[24:25]
	;; [unrolled: 1-line block ×3, first 2 shown]
	v_mul_f64 v[33:34], v[2:3], s[16:17]
	v_mul_f64 v[20:21], v[20:21], s[14:15]
	;; [unrolled: 1-line block ×3, first 2 shown]
	v_add_f64 v[2:3], v[58:59], v[10:11]
	v_mul_f64 v[26:27], v[14:15], s[10:11]
	v_mul_f64 v[37:38], v[37:38], s[16:17]
	v_add_f64 v[0:1], v[56:57], v[41:42]
	v_mul_f64 v[31:32], v[16:17], s[10:11]
	v_add_f64 v[8:9], v[12:13], v[8:9]
	v_add_f64 v[4:5], v[4:5], v[6:7]
	v_fma_f64 v[6:7], v[43:44], s[22:23], v[33:34]
	v_fma_f64 v[12:13], v[14:15], s[10:11], v[20:21]
	;; [unrolled: 1-line block ×3, first 2 shown]
	v_fma_f64 v[16:17], v[43:44], s[24:25], -v[45:46]
	v_fma_f64 v[33:34], v[35:36], s[2:3], -v[33:34]
	v_fma_f64 v[10:11], v[10:11], s[12:13], v[2:3]
	v_fma_f64 v[20:21], v[24:25], s[20:21], -v[20:21]
	v_fma_f64 v[24:25], v[24:25], s[18:19], -v[26:27]
	v_fma_f64 v[26:27], v[18:19], s[22:23], v[37:38]
	;; [unrolled: 3-line block ×4, first 2 shown]
	v_fma_f64 v[16:17], v[8:9], s[26:27], v[16:17]
	v_fma_f64 v[8:9], v[8:9], s[26:27], v[33:34]
	v_add_f64 v[12:13], v[12:13], v[10:11]
	v_add_f64 v[20:21], v[20:21], v[10:11]
	;; [unrolled: 1-line block ×3, first 2 shown]
	v_fma_f64 v[33:34], v[4:5], s[26:27], v[26:27]
	v_fma_f64 v[39:40], v[4:5], s[26:27], v[18:19]
	;; [unrolled: 1-line block ×3, first 2 shown]
	v_add_f64 v[35:36], v[14:15], v[37:38]
	v_add_f64 v[41:42], v[22:23], v[37:38]
	;; [unrolled: 1-line block ×3, first 2 shown]
	v_add_f64 v[26:27], v[12:13], -v[31:32]
	v_add_f64 v[10:11], v[16:17], v[20:21]
	v_add_f64 v[14:15], v[24:25], -v[8:9]
	v_add_f64 v[18:19], v[8:9], v[24:25]
	;; [unrolled: 2-line block ×3, first 2 shown]
	v_add_f64 v[24:25], v[33:34], v[35:36]
	v_add_f64 v[20:21], v[39:40], v[41:42]
	v_add_f64 v[16:17], v[29:30], -v[4:5]
	v_add_f64 v[12:13], v[4:5], v[29:30]
	v_add_f64 v[8:9], v[41:42], -v[39:40]
	v_add_f64 v[4:5], v[35:36], -v[33:34]
	ds_store_b128 v28, v[0:3] offset:1792
	ds_store_b128 v28, v[24:27] offset:3712
	;; [unrolled: 1-line block ×7, first 2 shown]
.LBB0_37:
	s_or_b32 exec_lo, exec_lo, s1
	s_waitcnt lgkmcnt(0)
	s_barrier
	buffer_gl0_inv
	ds_load_b128 v[0:3], v28
	ds_load_b128 v[4:7], v28 offset:6720
	ds_load_b128 v[8:11], v28 offset:896
	s_clause 0x3
	scratch_load_b64 v[12:13], off, off offset:8
	scratch_load_b32 v82, off, off offset:16
	scratch_load_b128 v[83:86], off, off offset:20
	scratch_load_b128 v[89:92], off, off offset:156
	s_mov_b32 s2, 0x13813814
	s_mov_b32 s3, 0x3f538138
	s_mul_i32 s1, s5, 0x1a4
	s_mul_hi_u32 s11, s4, 0xfffffe94
	s_mul_i32 s0, s4, 0x1a4
	s_mul_i32 s10, s5, 0xfffffe94
	;; [unrolled: 1-line block ×3, first 2 shown]
	ds_load_b128 v[16:19], v28 offset:7616
	s_waitcnt vmcnt(3)
	v_mov_b32_e32 v75, v12
	ds_load_b128 v[12:15], v28 offset:5376
	s_waitcnt vmcnt(1) lgkmcnt(4)
	v_mul_f64 v[59:60], v[85:86], v[2:3]
	v_mul_f64 v[61:62], v[85:86], v[0:1]
	scratch_load_b128 v[85:88], off, off offset:36 ; 16-byte Folded Reload
	ds_load_b128 v[20:23], v28 offset:1792
	ds_load_b128 v[24:27], v28 offset:8512
	;; [unrolled: 1-line block ×9, first 2 shown]
	s_clause 0x4
	scratch_load_b128 v[108:111], off, off offset:52
	scratch_load_b128 v[116:119], off, off offset:108
	;; [unrolled: 1-line block ×5, first 2 shown]
	s_waitcnt vmcnt(6) lgkmcnt(12)
	v_mul_f64 v[63:64], v[91:92], v[6:7]
	v_mul_f64 v[65:66], v[91:92], v[4:5]
	v_mad_u64_u32 v[53:54], null, s6, v75, 0
	v_mad_u64_u32 v[71:72], null, s4, v82, 0
	s_mul_hi_u32 s6, s4, 0x1a4
	s_sub_i32 s4, s11, s4
	s_add_i32 s1, s6, s1
	s_add_i32 s13, s4, s10
	s_lshl_b64 s[10:11], s[0:1], 4
	s_lshl_b64 s[12:13], s[12:13], 4
	s_waitcnt lgkmcnt(0)
	v_mad_u64_u32 v[73:74], null, s7, v75, v[54:55]
	s_delay_alu instid0(VALU_DEP_1) | instskip(NEXT) | instid1(VALU_DEP_1)
	v_mov_b32_e32 v54, v73
	v_lshlrev_b64 v[53:54], 4, v[53:54]
	v_fma_f64 v[0:1], v[83:84], v[0:1], v[59:60]
	v_mad_u64_u32 v[59:60], null, s5, v82, v[72:73]
	v_fma_f64 v[2:3], v[83:84], v[2:3], -v[61:62]
	s_delay_alu instid0(VALU_DEP_4) | instskip(NEXT) | instid1(VALU_DEP_1)
	v_add_co_u32 v53, s0, s8, v53
	v_add_co_ci_u32_e64 v54, s0, s9, v54, s0
	v_fma_f64 v[4:5], v[89:90], v[4:5], v[63:64]
	v_fma_f64 v[6:7], v[89:90], v[6:7], -v[65:66]
	v_mov_b32_e32 v72, v59
	v_mul_f64 v[0:1], v[0:1], s[2:3]
	v_mul_f64 v[2:3], v[2:3], s[2:3]
	;; [unrolled: 1-line block ×4, first 2 shown]
	s_waitcnt vmcnt(5)
	v_mul_f64 v[67:68], v[87:88], v[10:11]
	v_mul_f64 v[69:70], v[87:88], v[8:9]
	s_waitcnt vmcnt(4)
	v_mul_f64 v[78:79], v[110:111], v[22:23]
	v_mul_f64 v[80:81], v[110:111], v[20:21]
	scratch_load_b128 v[110:113], off, off offset:76 ; 16-byte Folded Reload
	s_waitcnt vmcnt(2)
	v_mul_f64 v[60:61], v[122:123], v[26:27]
	v_mul_f64 v[62:63], v[122:123], v[24:25]
	;; [unrolled: 1-line block ×3, first 2 shown]
	v_fma_f64 v[8:9], v[85:86], v[8:9], v[67:68]
	v_fma_f64 v[10:11], v[85:86], v[10:11], -v[69:70]
	v_mul_f64 v[68:69], v[118:119], v[35:36]
	v_fma_f64 v[20:21], v[108:109], v[20:21], v[78:79]
	v_fma_f64 v[22:23], v[108:109], v[22:23], -v[80:81]
	v_fma_f64 v[24:25], v[120:121], v[24:25], v[60:61]
	v_fma_f64 v[26:27], v[120:121], v[26:27], -v[62:63]
	v_lshlrev_b64 v[70:71], 4, v[71:72]
	v_fma_f64 v[35:36], v[116:117], v[35:36], -v[82:83]
	s_delay_alu instid0(VALU_DEP_2) | instskip(NEXT) | instid1(VALU_DEP_1)
	v_add_co_u32 v53, s0, v53, v70
	v_add_co_ci_u32_e64 v54, s0, v54, v71, s0
	s_delay_alu instid0(VALU_DEP_2) | instskip(NEXT) | instid1(VALU_DEP_1)
	v_add_co_u32 v59, s0, v53, s10
	v_add_co_ci_u32_e64 v60, s0, s11, v54, s0
	;; [unrolled: 3-line block ×3, first 2 shown]
	v_mul_f64 v[8:9], v[8:9], s[2:3]
	v_mul_f64 v[10:11], v[10:11], s[2:3]
	v_fma_f64 v[33:34], v[116:117], v[33:34], v[68:69]
	s_waitcnt vmcnt(0)
	v_mul_f64 v[64:65], v[112:113], v[31:32]
	v_mul_f64 v[66:67], v[112:113], v[29:30]
	scratch_load_b128 v[112:115], off, off offset:92 ; 16-byte Folded Reload
	v_mul_f64 v[74:75], v[126:127], v[18:19]
	v_mul_f64 v[76:77], v[126:127], v[16:17]
	scratch_load_b128 v[126:129], off, off offset:172 ; 16-byte Folded Reload
	;; [unrolled: 3-line block ×3, first 2 shown]
	v_fma_f64 v[29:30], v[110:111], v[29:30], v[64:65]
	v_fma_f64 v[31:32], v[110:111], v[31:32], -v[66:67]
	v_add_co_u32 v67, s0, v61, s10
	v_fma_f64 v[16:17], v[124:125], v[16:17], v[74:75]
	v_fma_f64 v[18:19], v[124:125], v[18:19], -v[76:77]
	v_fma_f64 v[37:38], v[130:131], v[37:38], v[88:89]
	v_fma_f64 v[39:40], v[130:131], v[39:40], -v[90:91]
	v_add_co_ci_u32_e64 v68, s0, s11, v62, s0
	s_waitcnt vmcnt(2)
	v_mul_f64 v[84:85], v[114:115], v[43:44]
	v_mul_f64 v[86:87], v[114:115], v[41:42]
	s_waitcnt vmcnt(1)
	v_mul_f64 v[92:93], v[128:129], v[47:48]
	v_mul_f64 v[94:95], v[128:129], v[45:46]
	;; [unrolled: 3-line block ×3, first 2 shown]
	scratch_load_b128 v[134:137], off, off offset:220 ; 16-byte Folded Reload
	v_fma_f64 v[41:42], v[112:113], v[41:42], v[84:85]
	v_fma_f64 v[43:44], v[112:113], v[43:44], -v[86:87]
	v_fma_f64 v[45:46], v[126:127], v[45:46], v[92:93]
	v_fma_f64 v[47:48], v[126:127], v[47:48], -v[94:95]
	;; [unrolled: 2-line block ×3, first 2 shown]
	s_waitcnt vmcnt(0)
	v_mul_f64 v[100:101], v[136:137], v[14:15]
	v_mul_f64 v[102:103], v[136:137], v[12:13]
	scratch_load_b128 v[136:139], off, off offset:236 ; 16-byte Folded Reload
	s_clause 0x2
	global_store_b128 v[53:54], v[0:3], off
	global_store_b128 v[59:60], v[4:7], off
	;; [unrolled: 1-line block ×3, first 2 shown]
	v_mul_f64 v[0:1], v[24:25], s[2:3]
	v_mul_f64 v[2:3], v[26:27], s[2:3]
	;; [unrolled: 1-line block ×4, first 2 shown]
	v_add_co_u32 v53, s0, v67, s12
	s_delay_alu instid0(VALU_DEP_1) | instskip(SKIP_1) | instid1(VALU_DEP_3)
	v_add_co_ci_u32_e64 v54, s0, s13, v68, s0
	v_mul_f64 v[8:9], v[33:34], s[2:3]
	v_add_co_u32 v59, s0, v53, s10
	s_delay_alu instid0(VALU_DEP_1) | instskip(SKIP_1) | instid1(VALU_DEP_3)
	v_add_co_ci_u32_e64 v60, s0, s11, v54, s0
	v_mul_f64 v[10:11], v[35:36], s[2:3]
	v_add_co_u32 v61, s0, v59, s12
	s_delay_alu instid0(VALU_DEP_1)
	v_add_co_ci_u32_e64 v62, s0, s13, v60, s0
	v_mul_f64 v[24:25], v[37:38], s[2:3]
	v_mul_f64 v[26:27], v[39:40], s[2:3]
	v_mul_f64 v[29:30], v[45:46], s[2:3]
	v_mul_f64 v[31:32], v[47:48], s[2:3]
	v_add_co_u32 v45, s0, v61, s10
	v_mul_f64 v[33:34], v[49:50], s[2:3]
	v_mul_f64 v[35:36], v[51:52], s[2:3]
	v_add_co_ci_u32_e64 v46, s0, s11, v62, s0
	v_fma_f64 v[63:64], v[134:135], v[12:13], v[100:101]
	v_fma_f64 v[65:66], v[134:135], v[14:15], -v[102:103]
	v_mul_f64 v[12:13], v[16:17], s[2:3]
	v_mul_f64 v[14:15], v[18:19], s[2:3]
	;; [unrolled: 1-line block ×8, first 2 shown]
	global_store_b128 v[67:68], v[12:15], off
	v_add_co_u32 v12, s0, v45, s12
	s_delay_alu instid0(VALU_DEP_1) | instskip(SKIP_2) | instid1(VALU_DEP_1)
	v_add_co_ci_u32_e64 v13, s0, s13, v46, s0
	global_store_b128 v[53:54], v[16:19], off
	v_add_co_u32 v14, s0, v12, s10
	v_add_co_ci_u32_e64 v15, s0, s11, v13, s0
	global_store_b128 v[59:60], v[0:3], off
	v_add_co_u32 v2, s0, v14, s12
	s_delay_alu instid0(VALU_DEP_1) | instskip(SKIP_2) | instid1(VALU_DEP_1)
	v_add_co_ci_u32_e64 v3, s0, s13, v15, s0
	global_store_b128 v[61:62], v[4:7], off
	v_add_co_u32 v4, s0, v2, s10
	v_add_co_ci_u32_e64 v5, s0, s11, v3, s0
	;; [unrolled: 7-line block ×3, first 2 shown]
	s_waitcnt vmcnt(0)
	v_mul_f64 v[104:105], v[138:139], v[57:58]
	v_mul_f64 v[106:107], v[138:139], v[55:56]
	s_delay_alu instid0(VALU_DEP_2) | instskip(NEXT) | instid1(VALU_DEP_2)
	v_fma_f64 v[55:56], v[136:137], v[55:56], v[104:105]
	v_fma_f64 v[57:58], v[136:137], v[57:58], -v[106:107]
	s_delay_alu instid0(VALU_DEP_2) | instskip(NEXT) | instid1(VALU_DEP_2)
	v_mul_f64 v[41:42], v[55:56], s[2:3]
	v_mul_f64 v[43:44], v[57:58], s[2:3]
	global_store_b128 v[14:15], v[24:27], off
	global_store_b128 v[2:3], v[29:32], off
	;; [unrolled: 1-line block ×5, first 2 shown]
	s_and_b32 exec_lo, exec_lo, vcc_lo
	s_cbranch_execz .LBB0_39
; %bb.38:
	scratch_load_b64 v[2:3], off, off offset:68 ; 8-byte Folded Reload
	s_waitcnt vmcnt(0)
	global_load_b128 v[2:5], v[2:3], off offset:2176
	ds_load_b128 v[6:9], v28 offset:6272
	ds_load_b128 v[10:13], v28 offset:12992
	s_waitcnt vmcnt(0) lgkmcnt(1)
	v_mul_f64 v[14:15], v[8:9], v[4:5]
	v_mul_f64 v[4:5], v[6:7], v[4:5]
	s_delay_alu instid0(VALU_DEP_2) | instskip(NEXT) | instid1(VALU_DEP_2)
	v_fma_f64 v[6:7], v[6:7], v[2:3], v[14:15]
	v_fma_f64 v[4:5], v[2:3], v[8:9], -v[4:5]
	s_delay_alu instid0(VALU_DEP_2) | instskip(NEXT) | instid1(VALU_DEP_2)
	v_mul_f64 v[2:3], v[6:7], s[2:3]
	v_mul_f64 v[4:5], v[4:5], s[2:3]
	v_add_co_u32 v6, vcc_lo, v0, s12
	v_add_co_ci_u32_e32 v7, vcc_lo, s13, v1, vcc_lo
	global_store_b128 v[6:7], v[2:5], off
	global_load_b128 v[0:3], v[196:197], off offset:704
	s_waitcnt vmcnt(0) lgkmcnt(0)
	v_mul_f64 v[4:5], v[12:13], v[2:3]
	v_mul_f64 v[2:3], v[10:11], v[2:3]
	s_delay_alu instid0(VALU_DEP_2) | instskip(NEXT) | instid1(VALU_DEP_2)
	v_fma_f64 v[4:5], v[10:11], v[0:1], v[4:5]
	v_fma_f64 v[2:3], v[0:1], v[12:13], -v[2:3]
	s_delay_alu instid0(VALU_DEP_2) | instskip(NEXT) | instid1(VALU_DEP_2)
	v_mul_f64 v[0:1], v[4:5], s[2:3]
	v_mul_f64 v[2:3], v[2:3], s[2:3]
	v_add_co_u32 v4, vcc_lo, v6, s10
	v_add_co_ci_u32_e32 v5, vcc_lo, s11, v7, vcc_lo
	global_store_b128 v[4:5], v[0:3], off
.LBB0_39:
	s_nop 0
	s_sendmsg sendmsg(MSG_DEALLOC_VGPRS)
	s_endpgm
	.section	.rodata,"a",@progbits
	.p2align	6, 0x0
	.amdhsa_kernel bluestein_single_back_len840_dim1_dp_op_CI_CI
		.amdhsa_group_segment_fixed_size 13440
		.amdhsa_private_segment_fixed_size 496
		.amdhsa_kernarg_size 104
		.amdhsa_user_sgpr_count 15
		.amdhsa_user_sgpr_dispatch_ptr 0
		.amdhsa_user_sgpr_queue_ptr 0
		.amdhsa_user_sgpr_kernarg_segment_ptr 1
		.amdhsa_user_sgpr_dispatch_id 0
		.amdhsa_user_sgpr_private_segment_size 0
		.amdhsa_wavefront_size32 1
		.amdhsa_uses_dynamic_stack 0
		.amdhsa_enable_private_segment 1
		.amdhsa_system_sgpr_workgroup_id_x 1
		.amdhsa_system_sgpr_workgroup_id_y 0
		.amdhsa_system_sgpr_workgroup_id_z 0
		.amdhsa_system_sgpr_workgroup_info 0
		.amdhsa_system_vgpr_workitem_id 0
		.amdhsa_next_free_vgpr 256
		.amdhsa_next_free_sgpr 28
		.amdhsa_reserve_vcc 1
		.amdhsa_float_round_mode_32 0
		.amdhsa_float_round_mode_16_64 0
		.amdhsa_float_denorm_mode_32 3
		.amdhsa_float_denorm_mode_16_64 3
		.amdhsa_dx10_clamp 1
		.amdhsa_ieee_mode 1
		.amdhsa_fp16_overflow 0
		.amdhsa_workgroup_processor_mode 1
		.amdhsa_memory_ordered 1
		.amdhsa_forward_progress 0
		.amdhsa_shared_vgpr_count 0
		.amdhsa_exception_fp_ieee_invalid_op 0
		.amdhsa_exception_fp_denorm_src 0
		.amdhsa_exception_fp_ieee_div_zero 0
		.amdhsa_exception_fp_ieee_overflow 0
		.amdhsa_exception_fp_ieee_underflow 0
		.amdhsa_exception_fp_ieee_inexact 0
		.amdhsa_exception_int_div_zero 0
	.end_amdhsa_kernel
	.text
.Lfunc_end0:
	.size	bluestein_single_back_len840_dim1_dp_op_CI_CI, .Lfunc_end0-bluestein_single_back_len840_dim1_dp_op_CI_CI
                                        ; -- End function
	.section	.AMDGPU.csdata,"",@progbits
; Kernel info:
; codeLenInByte = 24964
; NumSgprs: 30
; NumVgprs: 256
; ScratchSize: 496
; MemoryBound: 0
; FloatMode: 240
; IeeeMode: 1
; LDSByteSize: 13440 bytes/workgroup (compile time only)
; SGPRBlocks: 3
; VGPRBlocks: 31
; NumSGPRsForWavesPerEU: 30
; NumVGPRsForWavesPerEU: 256
; Occupancy: 5
; WaveLimiterHint : 1
; COMPUTE_PGM_RSRC2:SCRATCH_EN: 1
; COMPUTE_PGM_RSRC2:USER_SGPR: 15
; COMPUTE_PGM_RSRC2:TRAP_HANDLER: 0
; COMPUTE_PGM_RSRC2:TGID_X_EN: 1
; COMPUTE_PGM_RSRC2:TGID_Y_EN: 0
; COMPUTE_PGM_RSRC2:TGID_Z_EN: 0
; COMPUTE_PGM_RSRC2:TIDIG_COMP_CNT: 0
	.text
	.p2alignl 7, 3214868480
	.fill 96, 4, 3214868480
	.type	__hip_cuid_2ca5b86f43a5b25a,@object ; @__hip_cuid_2ca5b86f43a5b25a
	.section	.bss,"aw",@nobits
	.globl	__hip_cuid_2ca5b86f43a5b25a
__hip_cuid_2ca5b86f43a5b25a:
	.byte	0                               ; 0x0
	.size	__hip_cuid_2ca5b86f43a5b25a, 1

	.ident	"AMD clang version 19.0.0git (https://github.com/RadeonOpenCompute/llvm-project roc-6.4.0 25133 c7fe45cf4b819c5991fe208aaa96edf142730f1d)"
	.section	".note.GNU-stack","",@progbits
	.addrsig
	.addrsig_sym __hip_cuid_2ca5b86f43a5b25a
	.amdgpu_metadata
---
amdhsa.kernels:
  - .args:
      - .actual_access:  read_only
        .address_space:  global
        .offset:         0
        .size:           8
        .value_kind:     global_buffer
      - .actual_access:  read_only
        .address_space:  global
        .offset:         8
        .size:           8
        .value_kind:     global_buffer
      - .actual_access:  read_only
        .address_space:  global
        .offset:         16
        .size:           8
        .value_kind:     global_buffer
      - .actual_access:  read_only
        .address_space:  global
        .offset:         24
        .size:           8
        .value_kind:     global_buffer
      - .actual_access:  read_only
        .address_space:  global
        .offset:         32
        .size:           8
        .value_kind:     global_buffer
      - .offset:         40
        .size:           8
        .value_kind:     by_value
      - .address_space:  global
        .offset:         48
        .size:           8
        .value_kind:     global_buffer
      - .address_space:  global
        .offset:         56
        .size:           8
        .value_kind:     global_buffer
      - .address_space:  global
        .offset:         64
        .size:           8
        .value_kind:     global_buffer
      - .address_space:  global
        .offset:         72
        .size:           8
        .value_kind:     global_buffer
      - .offset:         80
        .size:           4
        .value_kind:     by_value
      - .address_space:  global
        .offset:         88
        .size:           8
        .value_kind:     global_buffer
      - .address_space:  global
        .offset:         96
        .size:           8
        .value_kind:     global_buffer
    .group_segment_fixed_size: 13440
    .kernarg_segment_align: 8
    .kernarg_segment_size: 104
    .language:       OpenCL C
    .language_version:
      - 2
      - 0
    .max_flat_workgroup_size: 56
    .name:           bluestein_single_back_len840_dim1_dp_op_CI_CI
    .private_segment_fixed_size: 496
    .sgpr_count:     30
    .sgpr_spill_count: 0
    .symbol:         bluestein_single_back_len840_dim1_dp_op_CI_CI.kd
    .uniform_work_group_size: 1
    .uses_dynamic_stack: false
    .vgpr_count:     256
    .vgpr_spill_count: 123
    .wavefront_size: 32
    .workgroup_processor_mode: 1
amdhsa.target:   amdgcn-amd-amdhsa--gfx1100
amdhsa.version:
  - 1
  - 2
...

	.end_amdgpu_metadata
